;; amdgpu-corpus repo=ROCm/rocBLAS kind=compiled arch=gfx1030 opt=O3
	.amdgcn_target "amdgcn-amd-amdhsa--gfx1030"
	.amdhsa_code_object_version 6
	.section	.text._ZL20rocblas_trmvn_kernelILi64ELi16ELb0ELb1EPKfPfS2_EviT3_lllT4_lllT5_li,"axG",@progbits,_ZL20rocblas_trmvn_kernelILi64ELi16ELb0ELb1EPKfPfS2_EviT3_lllT4_lllT5_li,comdat
	.globl	_ZL20rocblas_trmvn_kernelILi64ELi16ELb0ELb1EPKfPfS2_EviT3_lllT4_lllT5_li ; -- Begin function _ZL20rocblas_trmvn_kernelILi64ELi16ELb0ELb1EPKfPfS2_EviT3_lllT4_lllT5_li
	.p2align	8
	.type	_ZL20rocblas_trmvn_kernelILi64ELi16ELb0ELb1EPKfPfS2_EviT3_lllT4_lllT5_li,@function
_ZL20rocblas_trmvn_kernelILi64ELi16ELb0ELb1EPKfPfS2_EviT3_lllT4_lllT5_li: ; @_ZL20rocblas_trmvn_kernelILi64ELi16ELb0ELb1EPKfPfS2_EviT3_lllT4_lllT5_li
; %bb.0:
	s_clause 0x1
	s_load_dwordx16 s[8:23], s[4:5], 0x8
	s_load_dword s24, s[4:5], 0x0
	v_lshl_add_u32 v2, s6, 6, v0
	v_cmp_eq_u32_e64 s0, 0, v1
	v_mov_b32_e32 v7, 0
	s_waitcnt lgkmcnt(0)
	s_mul_i32 s1, s23, s7
	v_cmp_gt_i32_e32 vcc_lo, s24, v2
	s_mul_hi_u32 s2, s22, s7
	s_add_i32 s3, s2, s1
	s_mul_i32 s2, s22, s7
	s_and_b32 s0, s0, vcc_lo
	s_and_saveexec_b32 s1, s0
	s_cbranch_execz .LBB0_2
; %bb.1:
	v_ashrrev_i32_e32 v5, 31, v2
	v_mul_lo_u32 v6, s21, v2
	v_mad_u64_u32 v[3:4], null, s20, v2, 0
	s_lshl_b64 s[22:23], s[2:3], 2
	v_mul_lo_u32 v5, s20, v5
	s_add_u32 s0, s16, s22
	s_addc_u32 s6, s17, s23
	s_lshl_b64 s[22:23], s[18:19], 2
	s_add_u32 s0, s0, s22
	s_addc_u32 s6, s6, s23
	v_add3_u32 v4, v4, v5, v6
	v_lshlrev_b64 v[3:4], 2, v[3:4]
	v_add_co_u32 v3, s0, s0, v3
	v_add_co_ci_u32_e64 v4, null, s6, v4, s0
	global_load_dword v7, v[3:4], off
.LBB0_2:
	s_or_b32 exec_lo, exec_lo, s1
	s_load_dword s6, s[4:5], 0x6c
	s_mov_b32 s22, exec_lo
	v_cmpx_gt_i32_e64 s24, v1
	s_cbranch_execz .LBB0_8
; %bb.3:
	v_mad_u64_u32 v[4:5], null, s12, v1, 0
	v_mad_u64_u32 v[8:9], null, s20, v1, 0
	s_lshl_b64 s[0:1], s[2:3], 2
	s_lshl_b64 s[2:3], s[18:19], 2
	s_mul_i32 s15, s15, s7
	s_add_u32 s2, s16, s2
	v_mad_u64_u32 v[5:6], null, s13, v1, v[5:6]
	v_mov_b32_e32 v6, v9
	s_mul_hi_u32 s18, s14, s7
	s_addc_u32 s3, s17, s3
	s_add_u32 s16, s2, s0
	v_ashrrev_i32_e32 v3, 31, v2
	s_mul_i32 s14, s14, s7
	s_addc_u32 s17, s3, s1
	s_waitcnt vmcnt(0)
	v_mad_u64_u32 v[9:10], null, s21, v1, v[6:7]
	s_add_i32 s15, s18, s15
	v_lshlrev_b64 v[4:5], 2, v[4:5]
	s_lshl_b64 s[0:1], s[10:11], 2
	s_lshl_b64 s[10:11], s[14:15], 2
	;; [unrolled: 1-line block ×3, first 2 shown]
	s_add_u32 s0, s0, s10
	v_lshlrev_b64 v[10:11], 2, v[2:3]
	s_addc_u32 s1, s1, s11
	v_add_co_u32 v6, s0, s0, v4
	v_add_co_ci_u32_e64 v5, null, s1, v5, s0
	v_lshlrev_b64 v[3:4], 2, v[8:9]
	v_add_co_u32 v6, s0, v6, v10
	v_add_co_ci_u32_e64 v8, null, v5, v11, s0
	s_mov_b32 s10, 0
	v_add_co_u32 v3, s0, s16, v3
	v_add_co_ci_u32_e64 v4, null, s17, v4, s0
	v_add_co_u32 v5, s0, s8, v6
	v_add_co_ci_u32_e64 v6, null, s9, v8, s0
	v_mov_b32_e32 v8, v1
	s_lshl_b64 s[8:9], s[12:13], 6
	s_inst_prefetch 0x1
	s_branch .LBB0_5
	.p2align	6
.LBB0_4:                                ;   in Loop: Header=BB0_5 Depth=1
	s_or_b32 exec_lo, exec_lo, s1
	v_add_nc_u32_e32 v8, 16, v8
	v_add_co_u32 v3, s0, v3, s2
	v_add_co_ci_u32_e64 v4, null, s3, v4, s0
	v_cmp_le_i32_e64 s0, s24, v8
	v_add_co_u32 v5, s1, v5, s8
	v_add_co_ci_u32_e64 v6, null, s9, v6, s1
	s_or_b32 s10, s0, s10
	s_andn2_b32 exec_lo, exec_lo, s10
	s_cbranch_execz .LBB0_7
.LBB0_5:                                ; =>This Inner Loop Header: Depth=1
	s_mov_b32 s1, exec_lo
	v_cmpx_gt_i32_e64 v8, v2
	s_cbranch_execz .LBB0_4
; %bb.6:                                ;   in Loop: Header=BB0_5 Depth=1
	global_load_dword v9, v[5:6], off
	global_load_dword v10, v[3:4], off
	s_waitcnt vmcnt(0)
	v_fmac_f32_e32 v7, v9, v10
	s_branch .LBB0_4
.LBB0_7:
	s_inst_prefetch 0x2
	s_or_b32 exec_lo, exec_lo, s10
.LBB0_8:
	s_or_b32 exec_lo, exec_lo, s22
	v_lshlrev_b32_e32 v3, 2, v0
	s_waitcnt lgkmcnt(0)
	s_and_b32 s1, 0xffff, s6
	s_mov_b32 s2, exec_lo
	v_mad_u32_u24 v0, v1, s1, v0
	v_lshl_add_u32 v4, v1, 8, v3
	s_waitcnt vmcnt(0)
	ds_write_b32 v4, v7
	s_waitcnt lgkmcnt(0)
	s_barrier
	buffer_gl0_inv
	v_cmpx_gt_u32_e32 64, v0
	s_cbranch_execz .LBB0_11
; %bb.9:
	v_mul_u32_u24_e32 v0, s1, v1
	v_lshl_add_u32 v9, v0, 2, v3
	ds_read2st64_b32 v[0:1], v9 offset1:1
	ds_read2st64_b32 v[3:4], v9 offset0:2 offset1:3
	ds_read2st64_b32 v[5:6], v9 offset0:4 offset1:5
	;; [unrolled: 1-line block ×3, first 2 shown]
	s_waitcnt lgkmcnt(3)
	v_add_f32_e32 v0, v0, v1
	s_waitcnt lgkmcnt(2)
	v_add_f32_e32 v0, v3, v0
	v_add_f32_e32 v0, v4, v0
	s_waitcnt lgkmcnt(1)
	v_add_f32_e32 v3, v5, v0
	ds_read2st64_b32 v[0:1], v9 offset0:8 offset1:9
	v_add_f32_e32 v3, v6, v3
	s_waitcnt lgkmcnt(1)
	v_add_f32_e32 v5, v7, v3
	ds_read2st64_b32 v[3:4], v9 offset0:10 offset1:11
	v_add_f32_e32 v10, v8, v5
	ds_read2st64_b32 v[5:6], v9 offset0:12 offset1:13
	ds_read2st64_b32 v[7:8], v9 offset0:14 offset1:15
	s_waitcnt lgkmcnt(3)
	v_add_f32_e32 v0, v0, v10
	v_add_f32_e32 v0, v1, v0
	s_waitcnt lgkmcnt(2)
	v_add_f32_e32 v0, v3, v0
	v_add_f32_e32 v0, v4, v0
	;; [unrolled: 3-line block ×4, first 2 shown]
	ds_write_b32 v9, v0
	s_and_b32 exec_lo, exec_lo, vcc_lo
	s_cbranch_execz .LBB0_11
; %bb.10:
	s_load_dwordx4 s[0:3], s[4:5], 0x48
	v_ashrrev_i32_e32 v3, 31, v2
	v_lshlrev_b64 v[1:2], 2, v[2:3]
	s_waitcnt lgkmcnt(0)
	s_mul_i32 s3, s3, s7
	s_mul_hi_u32 s4, s2, s7
	s_mul_i32 s2, s2, s7
	s_add_i32 s3, s4, s3
	s_lshl_b64 s[2:3], s[2:3], 2
	s_add_u32 s0, s0, s2
	s_addc_u32 s1, s1, s3
	v_add_co_u32 v1, vcc_lo, s0, v1
	v_add_co_ci_u32_e64 v2, null, s1, v2, vcc_lo
	global_store_dword v[1:2], v0, off
.LBB0_11:
	s_endpgm
	.section	.rodata,"a",@progbits
	.p2align	6, 0x0
	.amdhsa_kernel _ZL20rocblas_trmvn_kernelILi64ELi16ELb0ELb1EPKfPfS2_EviT3_lllT4_lllT5_li
		.amdhsa_group_segment_fixed_size 4096
		.amdhsa_private_segment_fixed_size 0
		.amdhsa_kernarg_size 352
		.amdhsa_user_sgpr_count 6
		.amdhsa_user_sgpr_private_segment_buffer 1
		.amdhsa_user_sgpr_dispatch_ptr 0
		.amdhsa_user_sgpr_queue_ptr 0
		.amdhsa_user_sgpr_kernarg_segment_ptr 1
		.amdhsa_user_sgpr_dispatch_id 0
		.amdhsa_user_sgpr_flat_scratch_init 0
		.amdhsa_user_sgpr_private_segment_size 0
		.amdhsa_wavefront_size32 1
		.amdhsa_uses_dynamic_stack 0
		.amdhsa_system_sgpr_private_segment_wavefront_offset 0
		.amdhsa_system_sgpr_workgroup_id_x 1
		.amdhsa_system_sgpr_workgroup_id_y 0
		.amdhsa_system_sgpr_workgroup_id_z 1
		.amdhsa_system_sgpr_workgroup_info 0
		.amdhsa_system_vgpr_workitem_id 1
		.amdhsa_next_free_vgpr 12
		.amdhsa_next_free_sgpr 25
		.amdhsa_reserve_vcc 1
		.amdhsa_reserve_flat_scratch 0
		.amdhsa_float_round_mode_32 0
		.amdhsa_float_round_mode_16_64 0
		.amdhsa_float_denorm_mode_32 3
		.amdhsa_float_denorm_mode_16_64 3
		.amdhsa_dx10_clamp 1
		.amdhsa_ieee_mode 1
		.amdhsa_fp16_overflow 0
		.amdhsa_workgroup_processor_mode 1
		.amdhsa_memory_ordered 1
		.amdhsa_forward_progress 1
		.amdhsa_shared_vgpr_count 0
		.amdhsa_exception_fp_ieee_invalid_op 0
		.amdhsa_exception_fp_denorm_src 0
		.amdhsa_exception_fp_ieee_div_zero 0
		.amdhsa_exception_fp_ieee_overflow 0
		.amdhsa_exception_fp_ieee_underflow 0
		.amdhsa_exception_fp_ieee_inexact 0
		.amdhsa_exception_int_div_zero 0
	.end_amdhsa_kernel
	.section	.text._ZL20rocblas_trmvn_kernelILi64ELi16ELb0ELb1EPKfPfS2_EviT3_lllT4_lllT5_li,"axG",@progbits,_ZL20rocblas_trmvn_kernelILi64ELi16ELb0ELb1EPKfPfS2_EviT3_lllT4_lllT5_li,comdat
.Lfunc_end0:
	.size	_ZL20rocblas_trmvn_kernelILi64ELi16ELb0ELb1EPKfPfS2_EviT3_lllT4_lllT5_li, .Lfunc_end0-_ZL20rocblas_trmvn_kernelILi64ELi16ELb0ELb1EPKfPfS2_EviT3_lllT4_lllT5_li
                                        ; -- End function
	.set _ZL20rocblas_trmvn_kernelILi64ELi16ELb0ELb1EPKfPfS2_EviT3_lllT4_lllT5_li.num_vgpr, 12
	.set _ZL20rocblas_trmvn_kernelILi64ELi16ELb0ELb1EPKfPfS2_EviT3_lllT4_lllT5_li.num_agpr, 0
	.set _ZL20rocblas_trmvn_kernelILi64ELi16ELb0ELb1EPKfPfS2_EviT3_lllT4_lllT5_li.numbered_sgpr, 25
	.set _ZL20rocblas_trmvn_kernelILi64ELi16ELb0ELb1EPKfPfS2_EviT3_lllT4_lllT5_li.num_named_barrier, 0
	.set _ZL20rocblas_trmvn_kernelILi64ELi16ELb0ELb1EPKfPfS2_EviT3_lllT4_lllT5_li.private_seg_size, 0
	.set _ZL20rocblas_trmvn_kernelILi64ELi16ELb0ELb1EPKfPfS2_EviT3_lllT4_lllT5_li.uses_vcc, 1
	.set _ZL20rocblas_trmvn_kernelILi64ELi16ELb0ELb1EPKfPfS2_EviT3_lllT4_lllT5_li.uses_flat_scratch, 0
	.set _ZL20rocblas_trmvn_kernelILi64ELi16ELb0ELb1EPKfPfS2_EviT3_lllT4_lllT5_li.has_dyn_sized_stack, 0
	.set _ZL20rocblas_trmvn_kernelILi64ELi16ELb0ELb1EPKfPfS2_EviT3_lllT4_lllT5_li.has_recursion, 0
	.set _ZL20rocblas_trmvn_kernelILi64ELi16ELb0ELb1EPKfPfS2_EviT3_lllT4_lllT5_li.has_indirect_call, 0
	.section	.AMDGPU.csdata,"",@progbits
; Kernel info:
; codeLenInByte = 900
; TotalNumSgprs: 27
; NumVgprs: 12
; ScratchSize: 0
; MemoryBound: 0
; FloatMode: 240
; IeeeMode: 1
; LDSByteSize: 4096 bytes/workgroup (compile time only)
; SGPRBlocks: 0
; VGPRBlocks: 1
; NumSGPRsForWavesPerEU: 27
; NumVGPRsForWavesPerEU: 12
; Occupancy: 16
; WaveLimiterHint : 0
; COMPUTE_PGM_RSRC2:SCRATCH_EN: 0
; COMPUTE_PGM_RSRC2:USER_SGPR: 6
; COMPUTE_PGM_RSRC2:TRAP_HANDLER: 0
; COMPUTE_PGM_RSRC2:TGID_X_EN: 1
; COMPUTE_PGM_RSRC2:TGID_Y_EN: 0
; COMPUTE_PGM_RSRC2:TGID_Z_EN: 1
; COMPUTE_PGM_RSRC2:TIDIG_COMP_CNT: 1
	.section	.text._ZL20rocblas_trmvt_kernelILi512ELb0ELb0ELb1EPKfPfS2_EviT3_lllT4_lllT5_li,"axG",@progbits,_ZL20rocblas_trmvt_kernelILi512ELb0ELb0ELb1EPKfPfS2_EviT3_lllT4_lllT5_li,comdat
	.globl	_ZL20rocblas_trmvt_kernelILi512ELb0ELb0ELb1EPKfPfS2_EviT3_lllT4_lllT5_li ; -- Begin function _ZL20rocblas_trmvt_kernelILi512ELb0ELb0ELb1EPKfPfS2_EviT3_lllT4_lllT5_li
	.p2align	8
	.type	_ZL20rocblas_trmvt_kernelILi512ELb0ELb0ELb1EPKfPfS2_EviT3_lllT4_lllT5_li,@function
_ZL20rocblas_trmvt_kernelILi512ELb0ELb0ELb1EPKfPfS2_EviT3_lllT4_lllT5_li: ; @_ZL20rocblas_trmvt_kernelILi512ELb0ELb0ELb1EPKfPfS2_EviT3_lllT4_lllT5_li
; %bb.0:
	s_load_dwordx16 s[8:23], s[4:5], 0x8
	v_mov_b32_e32 v5, 0
	v_cmp_eq_u32_e32 vcc_lo, 0, v0
	s_mov_b32 s0, s7
	s_waitcnt lgkmcnt(0)
	s_mul_i32 s1, s23, s7
	s_mul_hi_u32 s3, s22, s7
	s_mul_i32 s2, s22, s7
	s_add_i32 s3, s3, s1
	s_ashr_i32 s7, s6, 31
	s_and_saveexec_b32 s1, vcc_lo
	s_cbranch_execz .LBB1_2
; %bb.1:
	s_lshl_b64 s[22:23], s[2:3], 2
	s_mul_i32 s26, s20, s7
	s_add_u32 s24, s16, s22
	s_addc_u32 s25, s17, s23
	s_lshl_b64 s[22:23], s[18:19], 2
	s_add_u32 s24, s24, s22
	s_mul_hi_u32 s22, s20, s6
	s_addc_u32 s25, s25, s23
	s_add_i32 s22, s22, s26
	s_mul_i32 s23, s21, s6
	s_add_i32 s23, s22, s23
	s_mul_i32 s22, s20, s6
	s_lshl_b64 s[22:23], s[22:23], 2
	s_add_u32 s22, s24, s22
	s_addc_u32 s23, s25, s23
	s_load_dword s22, s[22:23], 0x0
	s_waitcnt lgkmcnt(0)
	v_add_f32_e64 v5, s22, 0
.LBB1_2:
	s_or_b32 exec_lo, exec_lo, s1
	s_load_dword s23, s[4:5], 0x0
	s_waitcnt lgkmcnt(0)
	v_cmp_gt_i32_e64 s1, s23, v0
	s_and_saveexec_b32 s22, s1
	s_cbranch_execz .LBB1_8
; %bb.3:
	v_mad_u64_u32 v[3:4], null, s20, v0, 0
	s_mul_i32 s15, s15, s0
	s_mul_hi_u32 s24, s14, s0
	s_mul_i32 s14, s14, s0
	s_add_i32 s15, s24, s15
	v_cndmask_b32_e64 v2, 0, v0, s1
	s_lshl_b64 s[14:15], s[14:15], 2
	v_mov_b32_e32 v1, v4
	s_add_u32 s14, s8, s14
	s_addc_u32 s15, s9, s15
	s_lshl_b64 s[8:9], s[10:11], 2
	v_lshlrev_b32_e32 v4, 2, v2
	v_mad_u64_u32 v[1:2], null, s21, v0, v[1:2]
	s_add_u32 s10, s14, s8
	s_addc_u32 s1, s15, s9
	s_mul_i32 s8, s12, s7
	s_mul_hi_u32 s9, s12, s6
	v_add_co_u32 v2, s10, s10, v4
	s_add_i32 s8, s9, s8
	s_mul_i32 s9, s13, s6
	v_add_co_ci_u32_e64 v6, null, s1, 0, s10
	s_add_i32 s9, s8, s9
	s_mul_i32 s8, s12, s6
	v_mov_b32_e32 v4, v1
	s_lshl_b64 s[8:9], s[8:9], 2
	s_lshl_b64 s[2:3], s[2:3], 2
	v_add_co_u32 v1, s1, v2, s8
	v_add_co_ci_u32_e64 v2, null, s9, v6, s1
	s_lshl_b64 s[8:9], s[18:19], 2
	v_lshlrev_b64 v[3:4], 2, v[3:4]
	s_add_u32 s1, s16, s8
	s_addc_u32 s8, s17, s9
	s_add_u32 s1, s1, s2
	s_addc_u32 s2, s8, s3
	v_mov_b32_e32 v6, v0
	v_add_co_u32 v3, s1, s1, v3
	v_add_co_ci_u32_e64 v4, null, s2, v4, s1
	s_mov_b32 s3, 0
	s_lshl_b64 s[8:9], s[20:21], 11
	s_inst_prefetch 0x1
	s_branch .LBB1_5
	.p2align	6
.LBB1_4:                                ;   in Loop: Header=BB1_5 Depth=1
	s_or_b32 exec_lo, exec_lo, s2
	v_add_nc_u32_e32 v6, 0x200, v6
	v_add_co_u32 v1, s1, 0x800, v1
	v_add_co_ci_u32_e64 v2, null, 0, v2, s1
	v_cmp_le_i32_e64 s1, s23, v6
	v_add_co_u32 v3, s2, v3, s8
	v_add_co_ci_u32_e64 v4, null, s9, v4, s2
	s_or_b32 s3, s1, s3
	s_andn2_b32 exec_lo, exec_lo, s3
	s_cbranch_execz .LBB1_7
.LBB1_5:                                ; =>This Inner Loop Header: Depth=1
	s_mov_b32 s2, exec_lo
	v_cmpx_gt_i32_e64 s6, v6
	s_cbranch_execz .LBB1_4
; %bb.6:                                ;   in Loop: Header=BB1_5 Depth=1
	global_load_dword v7, v[1:2], off
	global_load_dword v8, v[3:4], off
	s_waitcnt vmcnt(0)
	v_fmac_f32_e32 v5, v7, v8
	s_branch .LBB1_4
.LBB1_7:
	s_inst_prefetch 0x2
	s_or_b32 exec_lo, exec_lo, s3
.LBB1_8:
	s_or_b32 exec_lo, exec_lo, s22
	v_and_b32_e32 v6, 31, v0
	v_cmp_gt_u32_e64 s1, 32, v0
	v_lshlrev_b32_e32 v1, 2, v6
	s_and_saveexec_b32 s2, s1
; %bb.9:
	v_mov_b32_e32 v2, 0
	ds_write_b32 v1, v2
; %bb.10:
	s_or_b32 exec_lo, exec_lo, s2
	v_mbcnt_lo_u32_b32 v7, -1, 0
	s_mov_b32 s3, exec_lo
	s_waitcnt lgkmcnt(0)
	s_barrier
	buffer_gl0_inv
	v_lshl_or_b32 v2, v7, 2, 64
	v_cmp_gt_u32_e64 s2, 24, v7
	ds_bpermute_b32 v3, v2, v5
	v_cndmask_b32_e64 v2, 0, 8, s2
	v_cmp_gt_u32_e64 s2, 28, v7
	v_add_lshl_u32 v2, v2, v7, 2
	s_waitcnt lgkmcnt(0)
	v_add_f32_e32 v4, v5, v3
	v_cndmask_b32_e64 v3, 0, 4, s2
	v_cmp_gt_u32_e64 s2, 30, v7
	ds_bpermute_b32 v5, v2, v4
	v_add_lshl_u32 v3, v3, v7, 2
	s_waitcnt lgkmcnt(0)
	v_add_f32_e32 v5, v4, v5
	v_cndmask_b32_e64 v4, 0, 2, s2
	v_cmp_ne_u32_e64 s2, 31, v7
	ds_bpermute_b32 v8, v3, v5
	v_add_lshl_u32 v4, v4, v7, 2
	v_add_co_ci_u32_e64 v9, null, 0, v7, s2
	s_waitcnt lgkmcnt(0)
	v_add_f32_e32 v5, v5, v8
	ds_bpermute_b32 v8, v4, v5
	s_waitcnt lgkmcnt(0)
	v_add_f32_e32 v7, v5, v8
	v_lshlrev_b32_e32 v5, 2, v9
	ds_bpermute_b32 v8, v5, v7
	v_cmpx_eq_u32_e32 0, v6
	s_cbranch_execz .LBB1_12
; %bb.11:
	v_lshrrev_b32_e32 v6, 3, v0
	s_waitcnt lgkmcnt(0)
	v_add_f32_e32 v7, v7, v8
	v_and_b32_e32 v6, 60, v6
	ds_write_b32 v6, v7
.LBB1_12:
	s_or_b32 exec_lo, exec_lo, s3
	v_cmp_gt_u32_e64 s2, 16, v0
	v_mov_b32_e32 v0, 0
	s_waitcnt lgkmcnt(0)
	s_barrier
	buffer_gl0_inv
	s_and_saveexec_b32 s3, s2
	s_cbranch_execnz .LBB1_16
; %bb.13:
	s_or_b32 exec_lo, exec_lo, s3
	s_and_saveexec_b32 s2, s1
	s_cbranch_execnz .LBB1_17
.LBB1_14:
	s_or_b32 exec_lo, exec_lo, s2
	s_and_saveexec_b32 s1, vcc_lo
	s_cbranch_execnz .LBB1_18
.LBB1_15:
	s_endpgm
.LBB1_16:
	ds_read_b32 v0, v1
	s_or_b32 exec_lo, exec_lo, s3
	s_and_saveexec_b32 s2, s1
	s_cbranch_execz .LBB1_14
.LBB1_17:
	s_waitcnt lgkmcnt(0)
	ds_bpermute_b32 v1, v2, v0
	s_waitcnt lgkmcnt(0)
	v_add_f32_e32 v0, v0, v1
	ds_bpermute_b32 v1, v3, v0
	s_waitcnt lgkmcnt(0)
	v_add_f32_e32 v0, v0, v1
	;; [unrolled: 3-line block ×4, first 2 shown]
	s_or_b32 exec_lo, exec_lo, s2
	s_and_saveexec_b32 s1, vcc_lo
	s_cbranch_execz .LBB1_15
.LBB1_18:
	s_load_dwordx4 s[8:11], s[4:5], 0x48
	v_mov_b32_e32 v1, 0
	s_waitcnt lgkmcnt(0)
	s_mul_i32 s1, s11, s0
	s_mul_hi_u32 s2, s10, s0
	s_mul_i32 s0, s10, s0
	s_add_i32 s1, s2, s1
	s_lshl_b64 s[0:1], s[0:1], 2
	s_add_u32 s2, s8, s0
	s_addc_u32 s3, s9, s1
	s_lshl_b64 s[0:1], s[6:7], 2
	s_add_u32 s0, s2, s0
	s_addc_u32 s1, s3, s1
	global_store_dword v1, v0, s[0:1]
	s_endpgm
	.section	.rodata,"a",@progbits
	.p2align	6, 0x0
	.amdhsa_kernel _ZL20rocblas_trmvt_kernelILi512ELb0ELb0ELb1EPKfPfS2_EviT3_lllT4_lllT5_li
		.amdhsa_group_segment_fixed_size 128
		.amdhsa_private_segment_fixed_size 0
		.amdhsa_kernarg_size 92
		.amdhsa_user_sgpr_count 6
		.amdhsa_user_sgpr_private_segment_buffer 1
		.amdhsa_user_sgpr_dispatch_ptr 0
		.amdhsa_user_sgpr_queue_ptr 0
		.amdhsa_user_sgpr_kernarg_segment_ptr 1
		.amdhsa_user_sgpr_dispatch_id 0
		.amdhsa_user_sgpr_flat_scratch_init 0
		.amdhsa_user_sgpr_private_segment_size 0
		.amdhsa_wavefront_size32 1
		.amdhsa_uses_dynamic_stack 0
		.amdhsa_system_sgpr_private_segment_wavefront_offset 0
		.amdhsa_system_sgpr_workgroup_id_x 1
		.amdhsa_system_sgpr_workgroup_id_y 0
		.amdhsa_system_sgpr_workgroup_id_z 1
		.amdhsa_system_sgpr_workgroup_info 0
		.amdhsa_system_vgpr_workitem_id 0
		.amdhsa_next_free_vgpr 10
		.amdhsa_next_free_sgpr 27
		.amdhsa_reserve_vcc 1
		.amdhsa_reserve_flat_scratch 0
		.amdhsa_float_round_mode_32 0
		.amdhsa_float_round_mode_16_64 0
		.amdhsa_float_denorm_mode_32 3
		.amdhsa_float_denorm_mode_16_64 3
		.amdhsa_dx10_clamp 1
		.amdhsa_ieee_mode 1
		.amdhsa_fp16_overflow 0
		.amdhsa_workgroup_processor_mode 1
		.amdhsa_memory_ordered 1
		.amdhsa_forward_progress 1
		.amdhsa_shared_vgpr_count 0
		.amdhsa_exception_fp_ieee_invalid_op 0
		.amdhsa_exception_fp_denorm_src 0
		.amdhsa_exception_fp_ieee_div_zero 0
		.amdhsa_exception_fp_ieee_overflow 0
		.amdhsa_exception_fp_ieee_underflow 0
		.amdhsa_exception_fp_ieee_inexact 0
		.amdhsa_exception_int_div_zero 0
	.end_amdhsa_kernel
	.section	.text._ZL20rocblas_trmvt_kernelILi512ELb0ELb0ELb1EPKfPfS2_EviT3_lllT4_lllT5_li,"axG",@progbits,_ZL20rocblas_trmvt_kernelILi512ELb0ELb0ELb1EPKfPfS2_EviT3_lllT4_lllT5_li,comdat
.Lfunc_end1:
	.size	_ZL20rocblas_trmvt_kernelILi512ELb0ELb0ELb1EPKfPfS2_EviT3_lllT4_lllT5_li, .Lfunc_end1-_ZL20rocblas_trmvt_kernelILi512ELb0ELb0ELb1EPKfPfS2_EviT3_lllT4_lllT5_li
                                        ; -- End function
	.set _ZL20rocblas_trmvt_kernelILi512ELb0ELb0ELb1EPKfPfS2_EviT3_lllT4_lllT5_li.num_vgpr, 10
	.set _ZL20rocblas_trmvt_kernelILi512ELb0ELb0ELb1EPKfPfS2_EviT3_lllT4_lllT5_li.num_agpr, 0
	.set _ZL20rocblas_trmvt_kernelILi512ELb0ELb0ELb1EPKfPfS2_EviT3_lllT4_lllT5_li.numbered_sgpr, 27
	.set _ZL20rocblas_trmvt_kernelILi512ELb0ELb0ELb1EPKfPfS2_EviT3_lllT4_lllT5_li.num_named_barrier, 0
	.set _ZL20rocblas_trmvt_kernelILi512ELb0ELb0ELb1EPKfPfS2_EviT3_lllT4_lllT5_li.private_seg_size, 0
	.set _ZL20rocblas_trmvt_kernelILi512ELb0ELb0ELb1EPKfPfS2_EviT3_lllT4_lllT5_li.uses_vcc, 1
	.set _ZL20rocblas_trmvt_kernelILi512ELb0ELb0ELb1EPKfPfS2_EviT3_lllT4_lllT5_li.uses_flat_scratch, 0
	.set _ZL20rocblas_trmvt_kernelILi512ELb0ELb0ELb1EPKfPfS2_EviT3_lllT4_lllT5_li.has_dyn_sized_stack, 0
	.set _ZL20rocblas_trmvt_kernelILi512ELb0ELb0ELb1EPKfPfS2_EviT3_lllT4_lllT5_li.has_recursion, 0
	.set _ZL20rocblas_trmvt_kernelILi512ELb0ELb0ELb1EPKfPfS2_EviT3_lllT4_lllT5_li.has_indirect_call, 0
	.section	.AMDGPU.csdata,"",@progbits
; Kernel info:
; codeLenInByte = 1012
; TotalNumSgprs: 29
; NumVgprs: 10
; ScratchSize: 0
; MemoryBound: 0
; FloatMode: 240
; IeeeMode: 1
; LDSByteSize: 128 bytes/workgroup (compile time only)
; SGPRBlocks: 0
; VGPRBlocks: 1
; NumSGPRsForWavesPerEU: 29
; NumVGPRsForWavesPerEU: 10
; Occupancy: 16
; WaveLimiterHint : 0
; COMPUTE_PGM_RSRC2:SCRATCH_EN: 0
; COMPUTE_PGM_RSRC2:USER_SGPR: 6
; COMPUTE_PGM_RSRC2:TRAP_HANDLER: 0
; COMPUTE_PGM_RSRC2:TGID_X_EN: 1
; COMPUTE_PGM_RSRC2:TGID_Y_EN: 0
; COMPUTE_PGM_RSRC2:TGID_Z_EN: 1
; COMPUTE_PGM_RSRC2:TIDIG_COMP_CNT: 0
	.section	.text._ZL20rocblas_trmvt_kernelILi512ELb0ELb1ELb1EPKfPfS2_EviT3_lllT4_lllT5_li,"axG",@progbits,_ZL20rocblas_trmvt_kernelILi512ELb0ELb1ELb1EPKfPfS2_EviT3_lllT4_lllT5_li,comdat
	.globl	_ZL20rocblas_trmvt_kernelILi512ELb0ELb1ELb1EPKfPfS2_EviT3_lllT4_lllT5_li ; -- Begin function _ZL20rocblas_trmvt_kernelILi512ELb0ELb1ELb1EPKfPfS2_EviT3_lllT4_lllT5_li
	.p2align	8
	.type	_ZL20rocblas_trmvt_kernelILi512ELb0ELb1ELb1EPKfPfS2_EviT3_lllT4_lllT5_li,@function
_ZL20rocblas_trmvt_kernelILi512ELb0ELb1ELb1EPKfPfS2_EviT3_lllT4_lllT5_li: ; @_ZL20rocblas_trmvt_kernelILi512ELb0ELb1ELb1EPKfPfS2_EviT3_lllT4_lllT5_li
; %bb.0:
	s_load_dwordx16 s[8:23], s[4:5], 0x8
	v_mov_b32_e32 v5, 0
	v_cmp_eq_u32_e32 vcc_lo, 0, v0
	s_mov_b32 s0, s7
	s_waitcnt lgkmcnt(0)
	s_mul_i32 s1, s23, s7
	s_mul_hi_u32 s3, s22, s7
	s_mul_i32 s2, s22, s7
	s_add_i32 s3, s3, s1
	s_ashr_i32 s7, s6, 31
	s_and_saveexec_b32 s1, vcc_lo
	s_cbranch_execz .LBB2_2
; %bb.1:
	s_lshl_b64 s[22:23], s[2:3], 2
	s_mul_i32 s26, s20, s7
	s_add_u32 s24, s16, s22
	s_addc_u32 s25, s17, s23
	s_lshl_b64 s[22:23], s[18:19], 2
	s_add_u32 s24, s24, s22
	s_mul_hi_u32 s22, s20, s6
	s_addc_u32 s25, s25, s23
	s_add_i32 s22, s22, s26
	s_mul_i32 s23, s21, s6
	s_add_i32 s23, s22, s23
	s_mul_i32 s22, s20, s6
	s_lshl_b64 s[22:23], s[22:23], 2
	s_add_u32 s22, s24, s22
	s_addc_u32 s23, s25, s23
	s_load_dword s22, s[22:23], 0x0
	s_waitcnt lgkmcnt(0)
	v_add_f32_e64 v5, s22, 0
.LBB2_2:
	s_or_b32 exec_lo, exec_lo, s1
	s_load_dword s23, s[4:5], 0x0
	s_waitcnt lgkmcnt(0)
	v_cmp_gt_i32_e64 s1, s23, v0
	s_and_saveexec_b32 s22, s1
	s_cbranch_execz .LBB2_8
; %bb.3:
	v_mad_u64_u32 v[3:4], null, s20, v0, 0
	s_mul_i32 s15, s15, s0
	s_mul_hi_u32 s24, s14, s0
	s_mul_i32 s14, s14, s0
	s_add_i32 s15, s24, s15
	v_cndmask_b32_e64 v2, 0, v0, s1
	s_lshl_b64 s[14:15], s[14:15], 2
	v_mov_b32_e32 v1, v4
	s_add_u32 s14, s8, s14
	s_addc_u32 s15, s9, s15
	s_lshl_b64 s[8:9], s[10:11], 2
	v_lshlrev_b32_e32 v4, 2, v2
	v_mad_u64_u32 v[1:2], null, s21, v0, v[1:2]
	s_add_u32 s10, s14, s8
	s_addc_u32 s1, s15, s9
	s_mul_i32 s8, s12, s7
	s_mul_hi_u32 s9, s12, s6
	v_add_co_u32 v2, s10, s10, v4
	s_add_i32 s8, s9, s8
	s_mul_i32 s9, s13, s6
	v_add_co_ci_u32_e64 v6, null, s1, 0, s10
	s_add_i32 s9, s8, s9
	s_mul_i32 s8, s12, s6
	v_mov_b32_e32 v4, v1
	s_lshl_b64 s[8:9], s[8:9], 2
	s_lshl_b64 s[2:3], s[2:3], 2
	v_add_co_u32 v1, s1, v2, s8
	v_add_co_ci_u32_e64 v2, null, s9, v6, s1
	s_lshl_b64 s[8:9], s[18:19], 2
	v_lshlrev_b64 v[3:4], 2, v[3:4]
	s_add_u32 s1, s16, s8
	s_addc_u32 s8, s17, s9
	s_add_u32 s1, s1, s2
	s_addc_u32 s2, s8, s3
	v_mov_b32_e32 v6, v0
	v_add_co_u32 v3, s1, s1, v3
	v_add_co_ci_u32_e64 v4, null, s2, v4, s1
	s_mov_b32 s3, 0
	s_lshl_b64 s[8:9], s[20:21], 11
	s_inst_prefetch 0x1
	s_branch .LBB2_5
	.p2align	6
.LBB2_4:                                ;   in Loop: Header=BB2_5 Depth=1
	s_or_b32 exec_lo, exec_lo, s2
	v_add_nc_u32_e32 v6, 0x200, v6
	v_add_co_u32 v1, s1, 0x800, v1
	v_add_co_ci_u32_e64 v2, null, 0, v2, s1
	v_cmp_le_i32_e64 s1, s23, v6
	v_add_co_u32 v3, s2, v3, s8
	v_add_co_ci_u32_e64 v4, null, s9, v4, s2
	s_or_b32 s3, s1, s3
	s_andn2_b32 exec_lo, exec_lo, s3
	s_cbranch_execz .LBB2_7
.LBB2_5:                                ; =>This Inner Loop Header: Depth=1
	s_mov_b32 s2, exec_lo
	v_cmpx_gt_i32_e64 s6, v6
	s_cbranch_execz .LBB2_4
; %bb.6:                                ;   in Loop: Header=BB2_5 Depth=1
	global_load_dword v7, v[1:2], off
	global_load_dword v8, v[3:4], off
	s_waitcnt vmcnt(0)
	v_fmac_f32_e32 v5, v7, v8
	s_branch .LBB2_4
.LBB2_7:
	s_inst_prefetch 0x2
	s_or_b32 exec_lo, exec_lo, s3
.LBB2_8:
	s_or_b32 exec_lo, exec_lo, s22
	v_and_b32_e32 v6, 31, v0
	v_cmp_gt_u32_e64 s1, 32, v0
	v_lshlrev_b32_e32 v1, 2, v6
	s_and_saveexec_b32 s2, s1
; %bb.9:
	v_mov_b32_e32 v2, 0
	ds_write_b32 v1, v2
; %bb.10:
	s_or_b32 exec_lo, exec_lo, s2
	v_mbcnt_lo_u32_b32 v7, -1, 0
	s_mov_b32 s3, exec_lo
	s_waitcnt lgkmcnt(0)
	s_barrier
	buffer_gl0_inv
	v_lshl_or_b32 v2, v7, 2, 64
	v_cmp_gt_u32_e64 s2, 24, v7
	ds_bpermute_b32 v3, v2, v5
	v_cndmask_b32_e64 v2, 0, 8, s2
	v_cmp_gt_u32_e64 s2, 28, v7
	v_add_lshl_u32 v2, v2, v7, 2
	s_waitcnt lgkmcnt(0)
	v_add_f32_e32 v4, v5, v3
	v_cndmask_b32_e64 v3, 0, 4, s2
	v_cmp_gt_u32_e64 s2, 30, v7
	ds_bpermute_b32 v5, v2, v4
	v_add_lshl_u32 v3, v3, v7, 2
	s_waitcnt lgkmcnt(0)
	v_add_f32_e32 v5, v4, v5
	v_cndmask_b32_e64 v4, 0, 2, s2
	v_cmp_ne_u32_e64 s2, 31, v7
	ds_bpermute_b32 v8, v3, v5
	v_add_lshl_u32 v4, v4, v7, 2
	v_add_co_ci_u32_e64 v9, null, 0, v7, s2
	s_waitcnt lgkmcnt(0)
	v_add_f32_e32 v5, v5, v8
	ds_bpermute_b32 v8, v4, v5
	s_waitcnt lgkmcnt(0)
	v_add_f32_e32 v7, v5, v8
	v_lshlrev_b32_e32 v5, 2, v9
	ds_bpermute_b32 v8, v5, v7
	v_cmpx_eq_u32_e32 0, v6
	s_cbranch_execz .LBB2_12
; %bb.11:
	v_lshrrev_b32_e32 v6, 3, v0
	s_waitcnt lgkmcnt(0)
	v_add_f32_e32 v7, v7, v8
	v_and_b32_e32 v6, 60, v6
	ds_write_b32 v6, v7
.LBB2_12:
	s_or_b32 exec_lo, exec_lo, s3
	v_cmp_gt_u32_e64 s2, 16, v0
	v_mov_b32_e32 v0, 0
	s_waitcnt lgkmcnt(0)
	s_barrier
	buffer_gl0_inv
	s_and_saveexec_b32 s3, s2
	s_cbranch_execnz .LBB2_16
; %bb.13:
	s_or_b32 exec_lo, exec_lo, s3
	s_and_saveexec_b32 s2, s1
	s_cbranch_execnz .LBB2_17
.LBB2_14:
	s_or_b32 exec_lo, exec_lo, s2
	s_and_saveexec_b32 s1, vcc_lo
	s_cbranch_execnz .LBB2_18
.LBB2_15:
	s_endpgm
.LBB2_16:
	ds_read_b32 v0, v1
	s_or_b32 exec_lo, exec_lo, s3
	s_and_saveexec_b32 s2, s1
	s_cbranch_execz .LBB2_14
.LBB2_17:
	s_waitcnt lgkmcnt(0)
	ds_bpermute_b32 v1, v2, v0
	s_waitcnt lgkmcnt(0)
	v_add_f32_e32 v0, v0, v1
	ds_bpermute_b32 v1, v3, v0
	s_waitcnt lgkmcnt(0)
	v_add_f32_e32 v0, v0, v1
	;; [unrolled: 3-line block ×4, first 2 shown]
	s_or_b32 exec_lo, exec_lo, s2
	s_and_saveexec_b32 s1, vcc_lo
	s_cbranch_execz .LBB2_15
.LBB2_18:
	s_load_dwordx4 s[8:11], s[4:5], 0x48
	v_mov_b32_e32 v1, 0
	s_waitcnt lgkmcnt(0)
	s_mul_i32 s1, s11, s0
	s_mul_hi_u32 s2, s10, s0
	s_mul_i32 s0, s10, s0
	s_add_i32 s1, s2, s1
	s_lshl_b64 s[0:1], s[0:1], 2
	s_add_u32 s2, s8, s0
	s_addc_u32 s3, s9, s1
	s_lshl_b64 s[0:1], s[6:7], 2
	s_add_u32 s0, s2, s0
	s_addc_u32 s1, s3, s1
	global_store_dword v1, v0, s[0:1]
	s_endpgm
	.section	.rodata,"a",@progbits
	.p2align	6, 0x0
	.amdhsa_kernel _ZL20rocblas_trmvt_kernelILi512ELb0ELb1ELb1EPKfPfS2_EviT3_lllT4_lllT5_li
		.amdhsa_group_segment_fixed_size 128
		.amdhsa_private_segment_fixed_size 0
		.amdhsa_kernarg_size 92
		.amdhsa_user_sgpr_count 6
		.amdhsa_user_sgpr_private_segment_buffer 1
		.amdhsa_user_sgpr_dispatch_ptr 0
		.amdhsa_user_sgpr_queue_ptr 0
		.amdhsa_user_sgpr_kernarg_segment_ptr 1
		.amdhsa_user_sgpr_dispatch_id 0
		.amdhsa_user_sgpr_flat_scratch_init 0
		.amdhsa_user_sgpr_private_segment_size 0
		.amdhsa_wavefront_size32 1
		.amdhsa_uses_dynamic_stack 0
		.amdhsa_system_sgpr_private_segment_wavefront_offset 0
		.amdhsa_system_sgpr_workgroup_id_x 1
		.amdhsa_system_sgpr_workgroup_id_y 0
		.amdhsa_system_sgpr_workgroup_id_z 1
		.amdhsa_system_sgpr_workgroup_info 0
		.amdhsa_system_vgpr_workitem_id 0
		.amdhsa_next_free_vgpr 10
		.amdhsa_next_free_sgpr 27
		.amdhsa_reserve_vcc 1
		.amdhsa_reserve_flat_scratch 0
		.amdhsa_float_round_mode_32 0
		.amdhsa_float_round_mode_16_64 0
		.amdhsa_float_denorm_mode_32 3
		.amdhsa_float_denorm_mode_16_64 3
		.amdhsa_dx10_clamp 1
		.amdhsa_ieee_mode 1
		.amdhsa_fp16_overflow 0
		.amdhsa_workgroup_processor_mode 1
		.amdhsa_memory_ordered 1
		.amdhsa_forward_progress 1
		.amdhsa_shared_vgpr_count 0
		.amdhsa_exception_fp_ieee_invalid_op 0
		.amdhsa_exception_fp_denorm_src 0
		.amdhsa_exception_fp_ieee_div_zero 0
		.amdhsa_exception_fp_ieee_overflow 0
		.amdhsa_exception_fp_ieee_underflow 0
		.amdhsa_exception_fp_ieee_inexact 0
		.amdhsa_exception_int_div_zero 0
	.end_amdhsa_kernel
	.section	.text._ZL20rocblas_trmvt_kernelILi512ELb0ELb1ELb1EPKfPfS2_EviT3_lllT4_lllT5_li,"axG",@progbits,_ZL20rocblas_trmvt_kernelILi512ELb0ELb1ELb1EPKfPfS2_EviT3_lllT4_lllT5_li,comdat
.Lfunc_end2:
	.size	_ZL20rocblas_trmvt_kernelILi512ELb0ELb1ELb1EPKfPfS2_EviT3_lllT4_lllT5_li, .Lfunc_end2-_ZL20rocblas_trmvt_kernelILi512ELb0ELb1ELb1EPKfPfS2_EviT3_lllT4_lllT5_li
                                        ; -- End function
	.set _ZL20rocblas_trmvt_kernelILi512ELb0ELb1ELb1EPKfPfS2_EviT3_lllT4_lllT5_li.num_vgpr, 10
	.set _ZL20rocblas_trmvt_kernelILi512ELb0ELb1ELb1EPKfPfS2_EviT3_lllT4_lllT5_li.num_agpr, 0
	.set _ZL20rocblas_trmvt_kernelILi512ELb0ELb1ELb1EPKfPfS2_EviT3_lllT4_lllT5_li.numbered_sgpr, 27
	.set _ZL20rocblas_trmvt_kernelILi512ELb0ELb1ELb1EPKfPfS2_EviT3_lllT4_lllT5_li.num_named_barrier, 0
	.set _ZL20rocblas_trmvt_kernelILi512ELb0ELb1ELb1EPKfPfS2_EviT3_lllT4_lllT5_li.private_seg_size, 0
	.set _ZL20rocblas_trmvt_kernelILi512ELb0ELb1ELb1EPKfPfS2_EviT3_lllT4_lllT5_li.uses_vcc, 1
	.set _ZL20rocblas_trmvt_kernelILi512ELb0ELb1ELb1EPKfPfS2_EviT3_lllT4_lllT5_li.uses_flat_scratch, 0
	.set _ZL20rocblas_trmvt_kernelILi512ELb0ELb1ELb1EPKfPfS2_EviT3_lllT4_lllT5_li.has_dyn_sized_stack, 0
	.set _ZL20rocblas_trmvt_kernelILi512ELb0ELb1ELb1EPKfPfS2_EviT3_lllT4_lllT5_li.has_recursion, 0
	.set _ZL20rocblas_trmvt_kernelILi512ELb0ELb1ELb1EPKfPfS2_EviT3_lllT4_lllT5_li.has_indirect_call, 0
	.section	.AMDGPU.csdata,"",@progbits
; Kernel info:
; codeLenInByte = 1012
; TotalNumSgprs: 29
; NumVgprs: 10
; ScratchSize: 0
; MemoryBound: 0
; FloatMode: 240
; IeeeMode: 1
; LDSByteSize: 128 bytes/workgroup (compile time only)
; SGPRBlocks: 0
; VGPRBlocks: 1
; NumSGPRsForWavesPerEU: 29
; NumVGPRsForWavesPerEU: 10
; Occupancy: 16
; WaveLimiterHint : 0
; COMPUTE_PGM_RSRC2:SCRATCH_EN: 0
; COMPUTE_PGM_RSRC2:USER_SGPR: 6
; COMPUTE_PGM_RSRC2:TRAP_HANDLER: 0
; COMPUTE_PGM_RSRC2:TGID_X_EN: 1
; COMPUTE_PGM_RSRC2:TGID_Y_EN: 0
; COMPUTE_PGM_RSRC2:TGID_Z_EN: 1
; COMPUTE_PGM_RSRC2:TIDIG_COMP_CNT: 0
	.section	.text._ZL20rocblas_trmvn_kernelILi64ELi16ELb0ELb0EPKfPfS2_EviT3_lllT4_lllT5_li,"axG",@progbits,_ZL20rocblas_trmvn_kernelILi64ELi16ELb0ELb0EPKfPfS2_EviT3_lllT4_lllT5_li,comdat
	.globl	_ZL20rocblas_trmvn_kernelILi64ELi16ELb0ELb0EPKfPfS2_EviT3_lllT4_lllT5_li ; -- Begin function _ZL20rocblas_trmvn_kernelILi64ELi16ELb0ELb0EPKfPfS2_EviT3_lllT4_lllT5_li
	.p2align	8
	.type	_ZL20rocblas_trmvn_kernelILi64ELi16ELb0ELb0EPKfPfS2_EviT3_lllT4_lllT5_li,@function
_ZL20rocblas_trmvn_kernelILi64ELi16ELb0ELb0EPKfPfS2_EviT3_lllT4_lllT5_li: ; @_ZL20rocblas_trmvn_kernelILi64ELi16ELb0ELb0EPKfPfS2_EviT3_lllT4_lllT5_li
; %bb.0:
	s_clause 0x1
	s_load_dwordx16 s[8:23], s[4:5], 0x8
	s_load_dword s24, s[4:5], 0x0
	v_lshl_add_u32 v2, s6, 6, v0
	v_cmp_eq_u32_e64 s0, 0, v1
	v_mov_b32_e32 v7, 0
	s_waitcnt lgkmcnt(0)
	s_mul_i32 s1, s15, s7
	v_cmp_gt_i32_e32 vcc_lo, s24, v2
	s_mul_hi_u32 s3, s14, s7
	s_mul_i32 s2, s14, s7
	s_mul_i32 s6, s23, s7
	s_mul_hi_u32 s14, s22, s7
	s_add_i32 s3, s3, s1
	s_add_i32 s15, s14, s6
	s_mul_i32 s14, s22, s7
	s_and_b32 s0, s0, vcc_lo
	s_and_saveexec_b32 s1, s0
	s_cbranch_execz .LBB3_2
; %bb.1:
	v_ashrrev_i32_e32 v3, 31, v2
	v_mul_lo_u32 v8, v2, s13
	v_mul_lo_u32 v10, s21, v2
	v_mad_u64_u32 v[6:7], null, s20, v2, 0
	v_mul_lo_u32 v9, v3, s12
	v_mad_u64_u32 v[4:5], null, v2, s12, v[2:3]
	v_mul_lo_u32 v3, s20, v3
	s_lshl_b64 s[22:23], s[2:3], 2
	s_add_u32 s0, s8, s22
	s_addc_u32 s6, s9, s23
	s_lshl_b64 s[22:23], s[10:11], 2
	v_add3_u32 v5, v9, v5, v8
	s_add_u32 s0, s0, s22
	v_add3_u32 v7, v7, v3, v10
	s_addc_u32 s6, s6, s23
	s_lshl_b64 s[22:23], s[14:15], 2
	v_lshlrev_b64 v[3:4], 2, v[4:5]
	s_add_u32 s25, s16, s22
	v_lshlrev_b64 v[5:6], 2, v[6:7]
	s_addc_u32 s26, s17, s23
	s_lshl_b64 s[22:23], s[18:19], 2
	s_add_u32 s22, s25, s22
	v_add_co_u32 v3, s0, s0, v3
	s_addc_u32 s23, s26, s23
	v_add_co_ci_u32_e64 v4, null, s6, v4, s0
	v_add_co_u32 v5, s0, s22, v5
	v_add_co_ci_u32_e64 v6, null, s23, v6, s0
	global_load_dword v3, v[3:4], off
	global_load_dword v4, v[5:6], off
	s_waitcnt vmcnt(0)
	v_mul_f32_e32 v7, v3, v4
.LBB3_2:
	s_or_b32 exec_lo, exec_lo, s1
	s_load_dword s6, s[4:5], 0x6c
	s_mov_b32 s22, exec_lo
	v_cmpx_gt_i32_e64 s24, v1
	s_cbranch_execz .LBB3_8
; %bb.3:
	v_mad_u64_u32 v[4:5], null, s12, v1, 0
	v_mad_u64_u32 v[8:9], null, s20, v1, 0
	s_lshl_b64 s[0:1], s[18:19], 2
	s_lshl_b64 s[14:15], s[14:15], 2
	s_add_u32 s0, s16, s0
	v_ashrrev_i32_e32 v3, 31, v2
	v_mad_u64_u32 v[5:6], null, s13, v1, v[5:6]
	v_mov_b32_e32 v6, v9
	s_addc_u32 s1, s17, s1
	s_add_u32 s16, s0, s14
	s_addc_u32 s17, s1, s15
	s_lshl_b64 s[0:1], s[2:3], 2
	v_mad_u64_u32 v[9:10], null, s21, v1, v[6:7]
	v_lshlrev_b64 v[4:5], 2, v[4:5]
	s_lshl_b64 s[2:3], s[10:11], 2
	s_lshl_b64 s[14:15], s[20:21], 6
	s_add_u32 s0, s2, s0
	v_lshlrev_b64 v[10:11], 2, v[2:3]
	s_addc_u32 s1, s3, s1
	v_add_co_u32 v6, s0, s0, v4
	v_add_co_ci_u32_e64 v5, null, s1, v5, s0
	v_lshlrev_b64 v[3:4], 2, v[8:9]
	v_add_co_u32 v6, s0, v6, v10
	v_add_co_ci_u32_e64 v8, null, v5, v11, s0
	s_lshl_b64 s[2:3], s[12:13], 6
	v_add_co_u32 v3, s0, s16, v3
	v_add_co_ci_u32_e64 v4, null, s17, v4, s0
	v_add_co_u32 v5, s0, s8, v6
	v_add_co_ci_u32_e64 v6, null, s9, v8, s0
	v_mov_b32_e32 v8, v1
	s_mov_b32 s8, 0
	s_inst_prefetch 0x1
	s_branch .LBB3_5
	.p2align	6
.LBB3_4:                                ;   in Loop: Header=BB3_5 Depth=1
	s_or_b32 exec_lo, exec_lo, s1
	v_add_nc_u32_e32 v8, 16, v8
	v_add_co_u32 v3, s0, v3, s14
	v_add_co_ci_u32_e64 v4, null, s15, v4, s0
	v_cmp_le_i32_e64 s0, s24, v8
	v_add_co_u32 v5, s1, v5, s2
	v_add_co_ci_u32_e64 v6, null, s3, v6, s1
	s_or_b32 s8, s0, s8
	s_andn2_b32 exec_lo, exec_lo, s8
	s_cbranch_execz .LBB3_7
.LBB3_5:                                ; =>This Inner Loop Header: Depth=1
	s_mov_b32 s1, exec_lo
	v_cmpx_gt_i32_e64 v8, v2
	s_cbranch_execz .LBB3_4
; %bb.6:                                ;   in Loop: Header=BB3_5 Depth=1
	global_load_dword v9, v[5:6], off
	global_load_dword v10, v[3:4], off
	s_waitcnt vmcnt(0)
	v_fmac_f32_e32 v7, v9, v10
	s_branch .LBB3_4
.LBB3_7:
	s_inst_prefetch 0x2
	s_or_b32 exec_lo, exec_lo, s8
.LBB3_8:
	s_or_b32 exec_lo, exec_lo, s22
	v_lshlrev_b32_e32 v3, 2, v0
	s_waitcnt lgkmcnt(0)
	s_and_b32 s1, 0xffff, s6
	s_mov_b32 s2, exec_lo
	v_mad_u32_u24 v0, v1, s1, v0
	v_lshl_add_u32 v4, v1, 8, v3
	ds_write_b32 v4, v7
	s_waitcnt lgkmcnt(0)
	s_barrier
	buffer_gl0_inv
	v_cmpx_gt_u32_e32 64, v0
	s_cbranch_execz .LBB3_11
; %bb.9:
	v_mul_u32_u24_e32 v0, s1, v1
	v_lshl_add_u32 v9, v0, 2, v3
	ds_read2st64_b32 v[0:1], v9 offset1:1
	ds_read2st64_b32 v[3:4], v9 offset0:2 offset1:3
	ds_read2st64_b32 v[5:6], v9 offset0:4 offset1:5
	ds_read2st64_b32 v[7:8], v9 offset0:6 offset1:7
	s_waitcnt lgkmcnt(3)
	v_add_f32_e32 v0, v0, v1
	s_waitcnt lgkmcnt(2)
	v_add_f32_e32 v0, v3, v0
	v_add_f32_e32 v0, v4, v0
	s_waitcnt lgkmcnt(1)
	v_add_f32_e32 v3, v5, v0
	ds_read2st64_b32 v[0:1], v9 offset0:8 offset1:9
	v_add_f32_e32 v3, v6, v3
	s_waitcnt lgkmcnt(1)
	v_add_f32_e32 v5, v7, v3
	ds_read2st64_b32 v[3:4], v9 offset0:10 offset1:11
	v_add_f32_e32 v10, v8, v5
	ds_read2st64_b32 v[5:6], v9 offset0:12 offset1:13
	ds_read2st64_b32 v[7:8], v9 offset0:14 offset1:15
	s_waitcnt lgkmcnt(3)
	v_add_f32_e32 v0, v0, v10
	v_add_f32_e32 v0, v1, v0
	s_waitcnt lgkmcnt(2)
	v_add_f32_e32 v0, v3, v0
	v_add_f32_e32 v0, v4, v0
	;; [unrolled: 3-line block ×4, first 2 shown]
	ds_write_b32 v9, v0
	s_and_b32 exec_lo, exec_lo, vcc_lo
	s_cbranch_execz .LBB3_11
; %bb.10:
	s_load_dwordx4 s[0:3], s[4:5], 0x48
	v_ashrrev_i32_e32 v3, 31, v2
	v_lshlrev_b64 v[1:2], 2, v[2:3]
	s_waitcnt lgkmcnt(0)
	s_mul_i32 s3, s3, s7
	s_mul_hi_u32 s4, s2, s7
	s_mul_i32 s2, s2, s7
	s_add_i32 s3, s4, s3
	s_lshl_b64 s[2:3], s[2:3], 2
	s_add_u32 s0, s0, s2
	s_addc_u32 s1, s1, s3
	v_add_co_u32 v1, vcc_lo, s0, v1
	v_add_co_ci_u32_e64 v2, null, s1, v2, vcc_lo
	global_store_dword v[1:2], v0, off
.LBB3_11:
	s_endpgm
	.section	.rodata,"a",@progbits
	.p2align	6, 0x0
	.amdhsa_kernel _ZL20rocblas_trmvn_kernelILi64ELi16ELb0ELb0EPKfPfS2_EviT3_lllT4_lllT5_li
		.amdhsa_group_segment_fixed_size 4096
		.amdhsa_private_segment_fixed_size 0
		.amdhsa_kernarg_size 352
		.amdhsa_user_sgpr_count 6
		.amdhsa_user_sgpr_private_segment_buffer 1
		.amdhsa_user_sgpr_dispatch_ptr 0
		.amdhsa_user_sgpr_queue_ptr 0
		.amdhsa_user_sgpr_kernarg_segment_ptr 1
		.amdhsa_user_sgpr_dispatch_id 0
		.amdhsa_user_sgpr_flat_scratch_init 0
		.amdhsa_user_sgpr_private_segment_size 0
		.amdhsa_wavefront_size32 1
		.amdhsa_uses_dynamic_stack 0
		.amdhsa_system_sgpr_private_segment_wavefront_offset 0
		.amdhsa_system_sgpr_workgroup_id_x 1
		.amdhsa_system_sgpr_workgroup_id_y 0
		.amdhsa_system_sgpr_workgroup_id_z 1
		.amdhsa_system_sgpr_workgroup_info 0
		.amdhsa_system_vgpr_workitem_id 1
		.amdhsa_next_free_vgpr 12
		.amdhsa_next_free_sgpr 27
		.amdhsa_reserve_vcc 1
		.amdhsa_reserve_flat_scratch 0
		.amdhsa_float_round_mode_32 0
		.amdhsa_float_round_mode_16_64 0
		.amdhsa_float_denorm_mode_32 3
		.amdhsa_float_denorm_mode_16_64 3
		.amdhsa_dx10_clamp 1
		.amdhsa_ieee_mode 1
		.amdhsa_fp16_overflow 0
		.amdhsa_workgroup_processor_mode 1
		.amdhsa_memory_ordered 1
		.amdhsa_forward_progress 1
		.amdhsa_shared_vgpr_count 0
		.amdhsa_exception_fp_ieee_invalid_op 0
		.amdhsa_exception_fp_denorm_src 0
		.amdhsa_exception_fp_ieee_div_zero 0
		.amdhsa_exception_fp_ieee_overflow 0
		.amdhsa_exception_fp_ieee_underflow 0
		.amdhsa_exception_fp_ieee_inexact 0
		.amdhsa_exception_int_div_zero 0
	.end_amdhsa_kernel
	.section	.text._ZL20rocblas_trmvn_kernelILi64ELi16ELb0ELb0EPKfPfS2_EviT3_lllT4_lllT5_li,"axG",@progbits,_ZL20rocblas_trmvn_kernelILi64ELi16ELb0ELb0EPKfPfS2_EviT3_lllT4_lllT5_li,comdat
.Lfunc_end3:
	.size	_ZL20rocblas_trmvn_kernelILi64ELi16ELb0ELb0EPKfPfS2_EviT3_lllT4_lllT5_li, .Lfunc_end3-_ZL20rocblas_trmvn_kernelILi64ELi16ELb0ELb0EPKfPfS2_EviT3_lllT4_lllT5_li
                                        ; -- End function
	.set _ZL20rocblas_trmvn_kernelILi64ELi16ELb0ELb0EPKfPfS2_EviT3_lllT4_lllT5_li.num_vgpr, 12
	.set _ZL20rocblas_trmvn_kernelILi64ELi16ELb0ELb0EPKfPfS2_EviT3_lllT4_lllT5_li.num_agpr, 0
	.set _ZL20rocblas_trmvn_kernelILi64ELi16ELb0ELb0EPKfPfS2_EviT3_lllT4_lllT5_li.numbered_sgpr, 27
	.set _ZL20rocblas_trmvn_kernelILi64ELi16ELb0ELb0EPKfPfS2_EviT3_lllT4_lllT5_li.num_named_barrier, 0
	.set _ZL20rocblas_trmvn_kernelILi64ELi16ELb0ELb0EPKfPfS2_EviT3_lllT4_lllT5_li.private_seg_size, 0
	.set _ZL20rocblas_trmvn_kernelILi64ELi16ELb0ELb0EPKfPfS2_EviT3_lllT4_lllT5_li.uses_vcc, 1
	.set _ZL20rocblas_trmvn_kernelILi64ELi16ELb0ELb0EPKfPfS2_EviT3_lllT4_lllT5_li.uses_flat_scratch, 0
	.set _ZL20rocblas_trmvn_kernelILi64ELi16ELb0ELb0EPKfPfS2_EviT3_lllT4_lllT5_li.has_dyn_sized_stack, 0
	.set _ZL20rocblas_trmvn_kernelILi64ELi16ELb0ELb0EPKfPfS2_EviT3_lllT4_lllT5_li.has_recursion, 0
	.set _ZL20rocblas_trmvn_kernelILi64ELi16ELb0ELb0EPKfPfS2_EviT3_lllT4_lllT5_li.has_indirect_call, 0
	.section	.AMDGPU.csdata,"",@progbits
; Kernel info:
; codeLenInByte = 960
; TotalNumSgprs: 29
; NumVgprs: 12
; ScratchSize: 0
; MemoryBound: 0
; FloatMode: 240
; IeeeMode: 1
; LDSByteSize: 4096 bytes/workgroup (compile time only)
; SGPRBlocks: 0
; VGPRBlocks: 1
; NumSGPRsForWavesPerEU: 29
; NumVGPRsForWavesPerEU: 12
; Occupancy: 16
; WaveLimiterHint : 0
; COMPUTE_PGM_RSRC2:SCRATCH_EN: 0
; COMPUTE_PGM_RSRC2:USER_SGPR: 6
; COMPUTE_PGM_RSRC2:TRAP_HANDLER: 0
; COMPUTE_PGM_RSRC2:TGID_X_EN: 1
; COMPUTE_PGM_RSRC2:TGID_Y_EN: 0
; COMPUTE_PGM_RSRC2:TGID_Z_EN: 1
; COMPUTE_PGM_RSRC2:TIDIG_COMP_CNT: 1
	.section	.text._ZL20rocblas_trmvt_kernelILi512ELb0ELb0ELb0EPKfPfS2_EviT3_lllT4_lllT5_li,"axG",@progbits,_ZL20rocblas_trmvt_kernelILi512ELb0ELb0ELb0EPKfPfS2_EviT3_lllT4_lllT5_li,comdat
	.globl	_ZL20rocblas_trmvt_kernelILi512ELb0ELb0ELb0EPKfPfS2_EviT3_lllT4_lllT5_li ; -- Begin function _ZL20rocblas_trmvt_kernelILi512ELb0ELb0ELb0EPKfPfS2_EviT3_lllT4_lllT5_li
	.p2align	8
	.type	_ZL20rocblas_trmvt_kernelILi512ELb0ELb0ELb0EPKfPfS2_EviT3_lllT4_lllT5_li,@function
_ZL20rocblas_trmvt_kernelILi512ELb0ELb0ELb0EPKfPfS2_EviT3_lllT4_lllT5_li: ; @_ZL20rocblas_trmvt_kernelILi512ELb0ELb0ELb0EPKfPfS2_EviT3_lllT4_lllT5_li
; %bb.0:
	s_clause 0x1
	s_load_dwordx16 s[8:23], s[4:5], 0x8
	s_load_dword s3, s[4:5], 0x0
	s_mov_b32 s0, s7
	v_mov_b32_e32 v5, 0
	s_waitcnt lgkmcnt(0)
	s_mul_i32 s1, s15, s7
	s_mul_hi_u32 s2, s14, s7
	s_mul_i32 s14, s14, s7
	s_add_i32 s15, s2, s1
	v_cmp_gt_i32_e64 s1, s3, v0
	s_lshl_b64 s[14:15], s[14:15], 2
	s_mul_i32 s23, s23, s7
	s_mul_hi_u32 s2, s22, s7
	s_add_u32 s7, s8, s14
	v_cndmask_b32_e64 v1, 0, v0, s1
	s_addc_u32 s14, s9, s15
	s_lshl_b64 s[8:9], s[10:11], 2
	s_mul_hi_u32 s10, s12, s6
	s_add_u32 s11, s7, s8
	s_addc_u32 s14, s14, s9
	s_ashr_i32 s7, s6, 31
	v_lshlrev_b32_e32 v1, 2, v1
	s_mul_i32 s8, s12, s7
	s_mul_i32 s9, s13, s6
	s_add_i32 s10, s10, s8
	s_mul_i32 s8, s12, s6
	s_add_i32 s9, s10, s9
	v_add_co_u32 v1, s10, s11, v1
	v_add_co_ci_u32_e64 v2, null, s14, 0, s10
	s_lshl_b64 s[8:9], s[8:9], 2
	v_add_co_u32 v1, vcc_lo, v1, s8
	v_add_co_ci_u32_e64 v2, null, s9, v2, vcc_lo
	v_cmp_eq_u32_e32 vcc_lo, 0, v0
	s_add_i32 s9, s2, s23
	s_mul_i32 s8, s22, s0
	s_and_saveexec_b32 s10, vcc_lo
	s_cbranch_execz .LBB4_2
; %bb.1:
	s_lshl_b64 s[12:13], s[8:9], 2
	s_add_u32 s2, s16, s12
	s_addc_u32 s11, s17, s13
	s_lshl_b64 s[12:13], s[18:19], 2
	s_add_u32 s14, s2, s12
	s_addc_u32 s11, s11, s13
	s_lshl_b64 s[12:13], s[6:7], 2
	v_add_co_u32 v3, s2, v1, s12
	v_add_co_ci_u32_e64 v4, null, s13, v2, s2
	s_mul_i32 s2, s20, s7
	s_mul_hi_u32 s12, s20, s6
	global_load_dword v3, v[3:4], off
	s_add_i32 s2, s12, s2
	s_mul_i32 s12, s21, s6
	s_add_i32 s13, s2, s12
	s_mul_i32 s12, s20, s6
	s_lshl_b64 s[12:13], s[12:13], 2
	s_add_u32 s12, s14, s12
	s_addc_u32 s13, s11, s13
	s_load_dword s2, s[12:13], 0x0
	s_waitcnt vmcnt(0) lgkmcnt(0)
	v_fma_f32 v5, v3, s2, 0
.LBB4_2:
	s_or_b32 exec_lo, exec_lo, s10
	s_and_saveexec_b32 s10, s1
	s_cbranch_execz .LBB4_8
; %bb.3:
	v_mad_u64_u32 v[3:4], null, s20, v0, 0
	s_lshl_b64 s[12:13], s[18:19], 2
	s_lshl_b64 s[8:9], s[8:9], 2
	s_add_u32 s1, s16, s12
	s_addc_u32 s2, s17, s13
	s_add_u32 s1, s1, s8
	s_addc_u32 s2, s2, s9
	v_mad_u64_u32 v[6:7], null, s21, v0, v[4:5]
	s_lshl_b64 s[8:9], s[20:21], 11
	s_mov_b32 s11, 0
	v_mov_b32_e32 v4, v6
	v_mov_b32_e32 v6, v0
	v_lshlrev_b64 v[3:4], 2, v[3:4]
	v_add_co_u32 v3, s1, s1, v3
	v_add_co_ci_u32_e64 v4, null, s2, v4, s1
	s_inst_prefetch 0x1
	s_branch .LBB4_5
	.p2align	6
.LBB4_4:                                ;   in Loop: Header=BB4_5 Depth=1
	s_or_b32 exec_lo, exec_lo, s2
	v_add_nc_u32_e32 v6, 0x200, v6
	v_add_co_u32 v1, s1, 0x800, v1
	v_add_co_ci_u32_e64 v2, null, 0, v2, s1
	v_cmp_le_i32_e64 s1, s3, v6
	v_add_co_u32 v3, s2, v3, s8
	v_add_co_ci_u32_e64 v4, null, s9, v4, s2
	s_or_b32 s11, s1, s11
	s_andn2_b32 exec_lo, exec_lo, s11
	s_cbranch_execz .LBB4_7
.LBB4_5:                                ; =>This Inner Loop Header: Depth=1
	s_mov_b32 s2, exec_lo
	v_cmpx_gt_i32_e64 s6, v6
	s_cbranch_execz .LBB4_4
; %bb.6:                                ;   in Loop: Header=BB4_5 Depth=1
	global_load_dword v7, v[1:2], off
	global_load_dword v8, v[3:4], off
	s_waitcnt vmcnt(0)
	v_fmac_f32_e32 v5, v7, v8
	s_branch .LBB4_4
.LBB4_7:
	s_inst_prefetch 0x2
	s_or_b32 exec_lo, exec_lo, s11
.LBB4_8:
	s_or_b32 exec_lo, exec_lo, s10
	v_and_b32_e32 v6, 31, v0
	v_cmp_gt_u32_e64 s1, 32, v0
	v_lshlrev_b32_e32 v1, 2, v6
	s_and_saveexec_b32 s2, s1
; %bb.9:
	v_mov_b32_e32 v2, 0
	ds_write_b32 v1, v2
; %bb.10:
	s_or_b32 exec_lo, exec_lo, s2
	v_mbcnt_lo_u32_b32 v7, -1, 0
	s_mov_b32 s3, exec_lo
	s_waitcnt lgkmcnt(0)
	s_barrier
	buffer_gl0_inv
	v_lshl_or_b32 v2, v7, 2, 64
	v_cmp_gt_u32_e64 s2, 24, v7
	ds_bpermute_b32 v3, v2, v5
	v_cndmask_b32_e64 v2, 0, 8, s2
	v_cmp_gt_u32_e64 s2, 28, v7
	v_add_lshl_u32 v2, v2, v7, 2
	s_waitcnt lgkmcnt(0)
	v_add_f32_e32 v4, v5, v3
	v_cndmask_b32_e64 v3, 0, 4, s2
	v_cmp_gt_u32_e64 s2, 30, v7
	ds_bpermute_b32 v5, v2, v4
	v_add_lshl_u32 v3, v3, v7, 2
	s_waitcnt lgkmcnt(0)
	v_add_f32_e32 v5, v4, v5
	v_cndmask_b32_e64 v4, 0, 2, s2
	v_cmp_ne_u32_e64 s2, 31, v7
	ds_bpermute_b32 v8, v3, v5
	v_add_lshl_u32 v4, v4, v7, 2
	v_add_co_ci_u32_e64 v9, null, 0, v7, s2
	s_waitcnt lgkmcnt(0)
	v_add_f32_e32 v5, v5, v8
	ds_bpermute_b32 v8, v4, v5
	s_waitcnt lgkmcnt(0)
	v_add_f32_e32 v7, v5, v8
	v_lshlrev_b32_e32 v5, 2, v9
	ds_bpermute_b32 v8, v5, v7
	v_cmpx_eq_u32_e32 0, v6
	s_cbranch_execz .LBB4_12
; %bb.11:
	v_lshrrev_b32_e32 v6, 3, v0
	s_waitcnt lgkmcnt(0)
	v_add_f32_e32 v7, v7, v8
	v_and_b32_e32 v6, 60, v6
	ds_write_b32 v6, v7
.LBB4_12:
	s_or_b32 exec_lo, exec_lo, s3
	v_cmp_gt_u32_e64 s2, 16, v0
	v_mov_b32_e32 v0, 0
	s_waitcnt lgkmcnt(0)
	s_barrier
	buffer_gl0_inv
	s_and_saveexec_b32 s3, s2
	s_cbranch_execnz .LBB4_16
; %bb.13:
	s_or_b32 exec_lo, exec_lo, s3
	s_and_saveexec_b32 s2, s1
	s_cbranch_execnz .LBB4_17
.LBB4_14:
	s_or_b32 exec_lo, exec_lo, s2
	s_and_saveexec_b32 s1, vcc_lo
	s_cbranch_execnz .LBB4_18
.LBB4_15:
	s_endpgm
.LBB4_16:
	ds_read_b32 v0, v1
	s_or_b32 exec_lo, exec_lo, s3
	s_and_saveexec_b32 s2, s1
	s_cbranch_execz .LBB4_14
.LBB4_17:
	s_waitcnt lgkmcnt(0)
	ds_bpermute_b32 v1, v2, v0
	s_waitcnt lgkmcnt(0)
	v_add_f32_e32 v0, v0, v1
	ds_bpermute_b32 v1, v3, v0
	s_waitcnt lgkmcnt(0)
	v_add_f32_e32 v0, v0, v1
	ds_bpermute_b32 v1, v4, v0
	s_waitcnt lgkmcnt(0)
	v_add_f32_e32 v0, v0, v1
	ds_bpermute_b32 v1, v5, v0
	s_waitcnt lgkmcnt(0)
	v_add_f32_e32 v0, v0, v1
	s_or_b32 exec_lo, exec_lo, s2
	s_and_saveexec_b32 s1, vcc_lo
	s_cbranch_execz .LBB4_15
.LBB4_18:
	s_load_dwordx4 s[8:11], s[4:5], 0x48
	v_mov_b32_e32 v1, 0
	s_waitcnt lgkmcnt(0)
	s_mul_i32 s1, s11, s0
	s_mul_hi_u32 s2, s10, s0
	s_mul_i32 s0, s10, s0
	s_add_i32 s1, s2, s1
	s_lshl_b64 s[0:1], s[0:1], 2
	s_add_u32 s2, s8, s0
	s_addc_u32 s3, s9, s1
	s_lshl_b64 s[0:1], s[6:7], 2
	s_add_u32 s0, s2, s0
	s_addc_u32 s1, s3, s1
	global_store_dword v1, v0, s[0:1]
	s_endpgm
	.section	.rodata,"a",@progbits
	.p2align	6, 0x0
	.amdhsa_kernel _ZL20rocblas_trmvt_kernelILi512ELb0ELb0ELb0EPKfPfS2_EviT3_lllT4_lllT5_li
		.amdhsa_group_segment_fixed_size 128
		.amdhsa_private_segment_fixed_size 0
		.amdhsa_kernarg_size 92
		.amdhsa_user_sgpr_count 6
		.amdhsa_user_sgpr_private_segment_buffer 1
		.amdhsa_user_sgpr_dispatch_ptr 0
		.amdhsa_user_sgpr_queue_ptr 0
		.amdhsa_user_sgpr_kernarg_segment_ptr 1
		.amdhsa_user_sgpr_dispatch_id 0
		.amdhsa_user_sgpr_flat_scratch_init 0
		.amdhsa_user_sgpr_private_segment_size 0
		.amdhsa_wavefront_size32 1
		.amdhsa_uses_dynamic_stack 0
		.amdhsa_system_sgpr_private_segment_wavefront_offset 0
		.amdhsa_system_sgpr_workgroup_id_x 1
		.amdhsa_system_sgpr_workgroup_id_y 0
		.amdhsa_system_sgpr_workgroup_id_z 1
		.amdhsa_system_sgpr_workgroup_info 0
		.amdhsa_system_vgpr_workitem_id 0
		.amdhsa_next_free_vgpr 10
		.amdhsa_next_free_sgpr 24
		.amdhsa_reserve_vcc 1
		.amdhsa_reserve_flat_scratch 0
		.amdhsa_float_round_mode_32 0
		.amdhsa_float_round_mode_16_64 0
		.amdhsa_float_denorm_mode_32 3
		.amdhsa_float_denorm_mode_16_64 3
		.amdhsa_dx10_clamp 1
		.amdhsa_ieee_mode 1
		.amdhsa_fp16_overflow 0
		.amdhsa_workgroup_processor_mode 1
		.amdhsa_memory_ordered 1
		.amdhsa_forward_progress 1
		.amdhsa_shared_vgpr_count 0
		.amdhsa_exception_fp_ieee_invalid_op 0
		.amdhsa_exception_fp_denorm_src 0
		.amdhsa_exception_fp_ieee_div_zero 0
		.amdhsa_exception_fp_ieee_overflow 0
		.amdhsa_exception_fp_ieee_underflow 0
		.amdhsa_exception_fp_ieee_inexact 0
		.amdhsa_exception_int_div_zero 0
	.end_amdhsa_kernel
	.section	.text._ZL20rocblas_trmvt_kernelILi512ELb0ELb0ELb0EPKfPfS2_EviT3_lllT4_lllT5_li,"axG",@progbits,_ZL20rocblas_trmvt_kernelILi512ELb0ELb0ELb0EPKfPfS2_EviT3_lllT4_lllT5_li,comdat
.Lfunc_end4:
	.size	_ZL20rocblas_trmvt_kernelILi512ELb0ELb0ELb0EPKfPfS2_EviT3_lllT4_lllT5_li, .Lfunc_end4-_ZL20rocblas_trmvt_kernelILi512ELb0ELb0ELb0EPKfPfS2_EviT3_lllT4_lllT5_li
                                        ; -- End function
	.set _ZL20rocblas_trmvt_kernelILi512ELb0ELb0ELb0EPKfPfS2_EviT3_lllT4_lllT5_li.num_vgpr, 10
	.set _ZL20rocblas_trmvt_kernelILi512ELb0ELb0ELb0EPKfPfS2_EviT3_lllT4_lllT5_li.num_agpr, 0
	.set _ZL20rocblas_trmvt_kernelILi512ELb0ELb0ELb0EPKfPfS2_EviT3_lllT4_lllT5_li.numbered_sgpr, 24
	.set _ZL20rocblas_trmvt_kernelILi512ELb0ELb0ELb0EPKfPfS2_EviT3_lllT4_lllT5_li.num_named_barrier, 0
	.set _ZL20rocblas_trmvt_kernelILi512ELb0ELb0ELb0EPKfPfS2_EviT3_lllT4_lllT5_li.private_seg_size, 0
	.set _ZL20rocblas_trmvt_kernelILi512ELb0ELb0ELb0EPKfPfS2_EviT3_lllT4_lllT5_li.uses_vcc, 1
	.set _ZL20rocblas_trmvt_kernelILi512ELb0ELb0ELb0EPKfPfS2_EviT3_lllT4_lllT5_li.uses_flat_scratch, 0
	.set _ZL20rocblas_trmvt_kernelILi512ELb0ELb0ELb0EPKfPfS2_EviT3_lllT4_lllT5_li.has_dyn_sized_stack, 0
	.set _ZL20rocblas_trmvt_kernelILi512ELb0ELb0ELb0EPKfPfS2_EviT3_lllT4_lllT5_li.has_recursion, 0
	.set _ZL20rocblas_trmvt_kernelILi512ELb0ELb0ELb0EPKfPfS2_EviT3_lllT4_lllT5_li.has_indirect_call, 0
	.section	.AMDGPU.csdata,"",@progbits
; Kernel info:
; codeLenInByte = 1076
; TotalNumSgprs: 26
; NumVgprs: 10
; ScratchSize: 0
; MemoryBound: 0
; FloatMode: 240
; IeeeMode: 1
; LDSByteSize: 128 bytes/workgroup (compile time only)
; SGPRBlocks: 0
; VGPRBlocks: 1
; NumSGPRsForWavesPerEU: 26
; NumVGPRsForWavesPerEU: 10
; Occupancy: 16
; WaveLimiterHint : 0
; COMPUTE_PGM_RSRC2:SCRATCH_EN: 0
; COMPUTE_PGM_RSRC2:USER_SGPR: 6
; COMPUTE_PGM_RSRC2:TRAP_HANDLER: 0
; COMPUTE_PGM_RSRC2:TGID_X_EN: 1
; COMPUTE_PGM_RSRC2:TGID_Y_EN: 0
; COMPUTE_PGM_RSRC2:TGID_Z_EN: 1
; COMPUTE_PGM_RSRC2:TIDIG_COMP_CNT: 0
	.section	.text._ZL20rocblas_trmvt_kernelILi512ELb0ELb1ELb0EPKfPfS2_EviT3_lllT4_lllT5_li,"axG",@progbits,_ZL20rocblas_trmvt_kernelILi512ELb0ELb1ELb0EPKfPfS2_EviT3_lllT4_lllT5_li,comdat
	.globl	_ZL20rocblas_trmvt_kernelILi512ELb0ELb1ELb0EPKfPfS2_EviT3_lllT4_lllT5_li ; -- Begin function _ZL20rocblas_trmvt_kernelILi512ELb0ELb1ELb0EPKfPfS2_EviT3_lllT4_lllT5_li
	.p2align	8
	.type	_ZL20rocblas_trmvt_kernelILi512ELb0ELb1ELb0EPKfPfS2_EviT3_lllT4_lllT5_li,@function
_ZL20rocblas_trmvt_kernelILi512ELb0ELb1ELb0EPKfPfS2_EviT3_lllT4_lllT5_li: ; @_ZL20rocblas_trmvt_kernelILi512ELb0ELb1ELb0EPKfPfS2_EviT3_lllT4_lllT5_li
; %bb.0:
	s_clause 0x1
	s_load_dwordx16 s[8:23], s[4:5], 0x8
	s_load_dword s3, s[4:5], 0x0
	s_mov_b32 s0, s7
	v_mov_b32_e32 v5, 0
	s_waitcnt lgkmcnt(0)
	s_mul_i32 s1, s15, s7
	s_mul_hi_u32 s2, s14, s7
	s_mul_i32 s14, s14, s7
	s_add_i32 s15, s2, s1
	v_cmp_gt_i32_e64 s1, s3, v0
	s_lshl_b64 s[14:15], s[14:15], 2
	s_mul_i32 s23, s23, s7
	s_mul_hi_u32 s2, s22, s7
	s_add_u32 s7, s8, s14
	v_cndmask_b32_e64 v1, 0, v0, s1
	s_addc_u32 s14, s9, s15
	s_lshl_b64 s[8:9], s[10:11], 2
	s_mul_hi_u32 s10, s12, s6
	s_add_u32 s11, s7, s8
	s_addc_u32 s14, s14, s9
	s_ashr_i32 s7, s6, 31
	v_lshlrev_b32_e32 v1, 2, v1
	s_mul_i32 s8, s12, s7
	s_mul_i32 s9, s13, s6
	s_add_i32 s10, s10, s8
	s_mul_i32 s8, s12, s6
	s_add_i32 s9, s10, s9
	v_add_co_u32 v1, s10, s11, v1
	v_add_co_ci_u32_e64 v2, null, s14, 0, s10
	s_lshl_b64 s[8:9], s[8:9], 2
	v_add_co_u32 v1, vcc_lo, v1, s8
	v_add_co_ci_u32_e64 v2, null, s9, v2, vcc_lo
	v_cmp_eq_u32_e32 vcc_lo, 0, v0
	s_add_i32 s9, s2, s23
	s_mul_i32 s8, s22, s0
	s_and_saveexec_b32 s10, vcc_lo
	s_cbranch_execz .LBB5_2
; %bb.1:
	s_lshl_b64 s[12:13], s[8:9], 2
	s_add_u32 s2, s16, s12
	s_addc_u32 s11, s17, s13
	s_lshl_b64 s[12:13], s[18:19], 2
	s_add_u32 s14, s2, s12
	s_addc_u32 s11, s11, s13
	s_lshl_b64 s[12:13], s[6:7], 2
	v_add_co_u32 v3, s2, v1, s12
	v_add_co_ci_u32_e64 v4, null, s13, v2, s2
	s_mul_i32 s2, s20, s7
	s_mul_hi_u32 s12, s20, s6
	global_load_dword v3, v[3:4], off
	s_add_i32 s2, s12, s2
	s_mul_i32 s12, s21, s6
	s_add_i32 s13, s2, s12
	s_mul_i32 s12, s20, s6
	s_lshl_b64 s[12:13], s[12:13], 2
	s_add_u32 s12, s14, s12
	s_addc_u32 s13, s11, s13
	s_load_dword s2, s[12:13], 0x0
	s_waitcnt vmcnt(0) lgkmcnt(0)
	v_fma_f32 v5, v3, s2, 0
.LBB5_2:
	s_or_b32 exec_lo, exec_lo, s10
	s_and_saveexec_b32 s10, s1
	s_cbranch_execz .LBB5_8
; %bb.3:
	v_mad_u64_u32 v[3:4], null, s20, v0, 0
	s_lshl_b64 s[12:13], s[18:19], 2
	s_lshl_b64 s[8:9], s[8:9], 2
	s_add_u32 s1, s16, s12
	s_addc_u32 s2, s17, s13
	s_add_u32 s1, s1, s8
	s_addc_u32 s2, s2, s9
	v_mad_u64_u32 v[6:7], null, s21, v0, v[4:5]
	s_lshl_b64 s[8:9], s[20:21], 11
	s_mov_b32 s11, 0
	v_mov_b32_e32 v4, v6
	v_mov_b32_e32 v6, v0
	v_lshlrev_b64 v[3:4], 2, v[3:4]
	v_add_co_u32 v3, s1, s1, v3
	v_add_co_ci_u32_e64 v4, null, s2, v4, s1
	s_inst_prefetch 0x1
	s_branch .LBB5_5
	.p2align	6
.LBB5_4:                                ;   in Loop: Header=BB5_5 Depth=1
	s_or_b32 exec_lo, exec_lo, s2
	v_add_nc_u32_e32 v6, 0x200, v6
	v_add_co_u32 v1, s1, 0x800, v1
	v_add_co_ci_u32_e64 v2, null, 0, v2, s1
	v_cmp_le_i32_e64 s1, s3, v6
	v_add_co_u32 v3, s2, v3, s8
	v_add_co_ci_u32_e64 v4, null, s9, v4, s2
	s_or_b32 s11, s1, s11
	s_andn2_b32 exec_lo, exec_lo, s11
	s_cbranch_execz .LBB5_7
.LBB5_5:                                ; =>This Inner Loop Header: Depth=1
	s_mov_b32 s2, exec_lo
	v_cmpx_gt_i32_e64 s6, v6
	s_cbranch_execz .LBB5_4
; %bb.6:                                ;   in Loop: Header=BB5_5 Depth=1
	global_load_dword v7, v[1:2], off
	global_load_dword v8, v[3:4], off
	s_waitcnt vmcnt(0)
	v_fmac_f32_e32 v5, v7, v8
	s_branch .LBB5_4
.LBB5_7:
	s_inst_prefetch 0x2
	s_or_b32 exec_lo, exec_lo, s11
.LBB5_8:
	s_or_b32 exec_lo, exec_lo, s10
	v_and_b32_e32 v6, 31, v0
	v_cmp_gt_u32_e64 s1, 32, v0
	v_lshlrev_b32_e32 v1, 2, v6
	s_and_saveexec_b32 s2, s1
; %bb.9:
	v_mov_b32_e32 v2, 0
	ds_write_b32 v1, v2
; %bb.10:
	s_or_b32 exec_lo, exec_lo, s2
	v_mbcnt_lo_u32_b32 v7, -1, 0
	s_mov_b32 s3, exec_lo
	s_waitcnt lgkmcnt(0)
	s_barrier
	buffer_gl0_inv
	v_lshl_or_b32 v2, v7, 2, 64
	v_cmp_gt_u32_e64 s2, 24, v7
	ds_bpermute_b32 v3, v2, v5
	v_cndmask_b32_e64 v2, 0, 8, s2
	v_cmp_gt_u32_e64 s2, 28, v7
	v_add_lshl_u32 v2, v2, v7, 2
	s_waitcnt lgkmcnt(0)
	v_add_f32_e32 v4, v5, v3
	v_cndmask_b32_e64 v3, 0, 4, s2
	v_cmp_gt_u32_e64 s2, 30, v7
	ds_bpermute_b32 v5, v2, v4
	v_add_lshl_u32 v3, v3, v7, 2
	s_waitcnt lgkmcnt(0)
	v_add_f32_e32 v5, v4, v5
	v_cndmask_b32_e64 v4, 0, 2, s2
	v_cmp_ne_u32_e64 s2, 31, v7
	ds_bpermute_b32 v8, v3, v5
	v_add_lshl_u32 v4, v4, v7, 2
	v_add_co_ci_u32_e64 v9, null, 0, v7, s2
	s_waitcnt lgkmcnt(0)
	v_add_f32_e32 v5, v5, v8
	ds_bpermute_b32 v8, v4, v5
	s_waitcnt lgkmcnt(0)
	v_add_f32_e32 v7, v5, v8
	v_lshlrev_b32_e32 v5, 2, v9
	ds_bpermute_b32 v8, v5, v7
	v_cmpx_eq_u32_e32 0, v6
	s_cbranch_execz .LBB5_12
; %bb.11:
	v_lshrrev_b32_e32 v6, 3, v0
	s_waitcnt lgkmcnt(0)
	v_add_f32_e32 v7, v7, v8
	v_and_b32_e32 v6, 60, v6
	ds_write_b32 v6, v7
.LBB5_12:
	s_or_b32 exec_lo, exec_lo, s3
	v_cmp_gt_u32_e64 s2, 16, v0
	v_mov_b32_e32 v0, 0
	s_waitcnt lgkmcnt(0)
	s_barrier
	buffer_gl0_inv
	s_and_saveexec_b32 s3, s2
	s_cbranch_execnz .LBB5_16
; %bb.13:
	s_or_b32 exec_lo, exec_lo, s3
	s_and_saveexec_b32 s2, s1
	s_cbranch_execnz .LBB5_17
.LBB5_14:
	s_or_b32 exec_lo, exec_lo, s2
	s_and_saveexec_b32 s1, vcc_lo
	s_cbranch_execnz .LBB5_18
.LBB5_15:
	s_endpgm
.LBB5_16:
	ds_read_b32 v0, v1
	s_or_b32 exec_lo, exec_lo, s3
	s_and_saveexec_b32 s2, s1
	s_cbranch_execz .LBB5_14
.LBB5_17:
	s_waitcnt lgkmcnt(0)
	ds_bpermute_b32 v1, v2, v0
	s_waitcnt lgkmcnt(0)
	v_add_f32_e32 v0, v0, v1
	ds_bpermute_b32 v1, v3, v0
	s_waitcnt lgkmcnt(0)
	v_add_f32_e32 v0, v0, v1
	;; [unrolled: 3-line block ×4, first 2 shown]
	s_or_b32 exec_lo, exec_lo, s2
	s_and_saveexec_b32 s1, vcc_lo
	s_cbranch_execz .LBB5_15
.LBB5_18:
	s_load_dwordx4 s[8:11], s[4:5], 0x48
	v_mov_b32_e32 v1, 0
	s_waitcnt lgkmcnt(0)
	s_mul_i32 s1, s11, s0
	s_mul_hi_u32 s2, s10, s0
	s_mul_i32 s0, s10, s0
	s_add_i32 s1, s2, s1
	s_lshl_b64 s[0:1], s[0:1], 2
	s_add_u32 s2, s8, s0
	s_addc_u32 s3, s9, s1
	s_lshl_b64 s[0:1], s[6:7], 2
	s_add_u32 s0, s2, s0
	s_addc_u32 s1, s3, s1
	global_store_dword v1, v0, s[0:1]
	s_endpgm
	.section	.rodata,"a",@progbits
	.p2align	6, 0x0
	.amdhsa_kernel _ZL20rocblas_trmvt_kernelILi512ELb0ELb1ELb0EPKfPfS2_EviT3_lllT4_lllT5_li
		.amdhsa_group_segment_fixed_size 128
		.amdhsa_private_segment_fixed_size 0
		.amdhsa_kernarg_size 92
		.amdhsa_user_sgpr_count 6
		.amdhsa_user_sgpr_private_segment_buffer 1
		.amdhsa_user_sgpr_dispatch_ptr 0
		.amdhsa_user_sgpr_queue_ptr 0
		.amdhsa_user_sgpr_kernarg_segment_ptr 1
		.amdhsa_user_sgpr_dispatch_id 0
		.amdhsa_user_sgpr_flat_scratch_init 0
		.amdhsa_user_sgpr_private_segment_size 0
		.amdhsa_wavefront_size32 1
		.amdhsa_uses_dynamic_stack 0
		.amdhsa_system_sgpr_private_segment_wavefront_offset 0
		.amdhsa_system_sgpr_workgroup_id_x 1
		.amdhsa_system_sgpr_workgroup_id_y 0
		.amdhsa_system_sgpr_workgroup_id_z 1
		.amdhsa_system_sgpr_workgroup_info 0
		.amdhsa_system_vgpr_workitem_id 0
		.amdhsa_next_free_vgpr 10
		.amdhsa_next_free_sgpr 24
		.amdhsa_reserve_vcc 1
		.amdhsa_reserve_flat_scratch 0
		.amdhsa_float_round_mode_32 0
		.amdhsa_float_round_mode_16_64 0
		.amdhsa_float_denorm_mode_32 3
		.amdhsa_float_denorm_mode_16_64 3
		.amdhsa_dx10_clamp 1
		.amdhsa_ieee_mode 1
		.amdhsa_fp16_overflow 0
		.amdhsa_workgroup_processor_mode 1
		.amdhsa_memory_ordered 1
		.amdhsa_forward_progress 1
		.amdhsa_shared_vgpr_count 0
		.amdhsa_exception_fp_ieee_invalid_op 0
		.amdhsa_exception_fp_denorm_src 0
		.amdhsa_exception_fp_ieee_div_zero 0
		.amdhsa_exception_fp_ieee_overflow 0
		.amdhsa_exception_fp_ieee_underflow 0
		.amdhsa_exception_fp_ieee_inexact 0
		.amdhsa_exception_int_div_zero 0
	.end_amdhsa_kernel
	.section	.text._ZL20rocblas_trmvt_kernelILi512ELb0ELb1ELb0EPKfPfS2_EviT3_lllT4_lllT5_li,"axG",@progbits,_ZL20rocblas_trmvt_kernelILi512ELb0ELb1ELb0EPKfPfS2_EviT3_lllT4_lllT5_li,comdat
.Lfunc_end5:
	.size	_ZL20rocblas_trmvt_kernelILi512ELb0ELb1ELb0EPKfPfS2_EviT3_lllT4_lllT5_li, .Lfunc_end5-_ZL20rocblas_trmvt_kernelILi512ELb0ELb1ELb0EPKfPfS2_EviT3_lllT4_lllT5_li
                                        ; -- End function
	.set _ZL20rocblas_trmvt_kernelILi512ELb0ELb1ELb0EPKfPfS2_EviT3_lllT4_lllT5_li.num_vgpr, 10
	.set _ZL20rocblas_trmvt_kernelILi512ELb0ELb1ELb0EPKfPfS2_EviT3_lllT4_lllT5_li.num_agpr, 0
	.set _ZL20rocblas_trmvt_kernelILi512ELb0ELb1ELb0EPKfPfS2_EviT3_lllT4_lllT5_li.numbered_sgpr, 24
	.set _ZL20rocblas_trmvt_kernelILi512ELb0ELb1ELb0EPKfPfS2_EviT3_lllT4_lllT5_li.num_named_barrier, 0
	.set _ZL20rocblas_trmvt_kernelILi512ELb0ELb1ELb0EPKfPfS2_EviT3_lllT4_lllT5_li.private_seg_size, 0
	.set _ZL20rocblas_trmvt_kernelILi512ELb0ELb1ELb0EPKfPfS2_EviT3_lllT4_lllT5_li.uses_vcc, 1
	.set _ZL20rocblas_trmvt_kernelILi512ELb0ELb1ELb0EPKfPfS2_EviT3_lllT4_lllT5_li.uses_flat_scratch, 0
	.set _ZL20rocblas_trmvt_kernelILi512ELb0ELb1ELb0EPKfPfS2_EviT3_lllT4_lllT5_li.has_dyn_sized_stack, 0
	.set _ZL20rocblas_trmvt_kernelILi512ELb0ELb1ELb0EPKfPfS2_EviT3_lllT4_lllT5_li.has_recursion, 0
	.set _ZL20rocblas_trmvt_kernelILi512ELb0ELb1ELb0EPKfPfS2_EviT3_lllT4_lllT5_li.has_indirect_call, 0
	.section	.AMDGPU.csdata,"",@progbits
; Kernel info:
; codeLenInByte = 1076
; TotalNumSgprs: 26
; NumVgprs: 10
; ScratchSize: 0
; MemoryBound: 0
; FloatMode: 240
; IeeeMode: 1
; LDSByteSize: 128 bytes/workgroup (compile time only)
; SGPRBlocks: 0
; VGPRBlocks: 1
; NumSGPRsForWavesPerEU: 26
; NumVGPRsForWavesPerEU: 10
; Occupancy: 16
; WaveLimiterHint : 0
; COMPUTE_PGM_RSRC2:SCRATCH_EN: 0
; COMPUTE_PGM_RSRC2:USER_SGPR: 6
; COMPUTE_PGM_RSRC2:TRAP_HANDLER: 0
; COMPUTE_PGM_RSRC2:TGID_X_EN: 1
; COMPUTE_PGM_RSRC2:TGID_Y_EN: 0
; COMPUTE_PGM_RSRC2:TGID_Z_EN: 1
; COMPUTE_PGM_RSRC2:TIDIG_COMP_CNT: 0
	.section	.text._ZL20rocblas_trmvn_kernelILi64ELi16ELb1ELb1EPKfPfS2_EviT3_lllT4_lllT5_li,"axG",@progbits,_ZL20rocblas_trmvn_kernelILi64ELi16ELb1ELb1EPKfPfS2_EviT3_lllT4_lllT5_li,comdat
	.globl	_ZL20rocblas_trmvn_kernelILi64ELi16ELb1ELb1EPKfPfS2_EviT3_lllT4_lllT5_li ; -- Begin function _ZL20rocblas_trmvn_kernelILi64ELi16ELb1ELb1EPKfPfS2_EviT3_lllT4_lllT5_li
	.p2align	8
	.type	_ZL20rocblas_trmvn_kernelILi64ELi16ELb1ELb1EPKfPfS2_EviT3_lllT4_lllT5_li,@function
_ZL20rocblas_trmvn_kernelILi64ELi16ELb1ELb1EPKfPfS2_EviT3_lllT4_lllT5_li: ; @_ZL20rocblas_trmvn_kernelILi64ELi16ELb1ELb1EPKfPfS2_EviT3_lllT4_lllT5_li
; %bb.0:
	s_clause 0x1
	s_load_dwordx16 s[8:23], s[4:5], 0x8
	s_load_dword s24, s[4:5], 0x0
	v_lshl_add_u32 v2, s6, 6, v0
	v_cmp_eq_u32_e64 s0, 0, v1
	v_mov_b32_e32 v7, 0
	s_waitcnt lgkmcnt(0)
	s_mul_i32 s1, s23, s7
	v_cmp_gt_i32_e32 vcc_lo, s24, v2
	s_mul_hi_u32 s2, s22, s7
	s_add_i32 s3, s2, s1
	s_mul_i32 s2, s22, s7
	s_and_b32 s0, s0, vcc_lo
	s_and_saveexec_b32 s1, s0
	s_cbranch_execz .LBB6_2
; %bb.1:
	v_ashrrev_i32_e32 v5, 31, v2
	v_mul_lo_u32 v6, s21, v2
	v_mad_u64_u32 v[3:4], null, s20, v2, 0
	s_lshl_b64 s[22:23], s[2:3], 2
	v_mul_lo_u32 v5, s20, v5
	s_add_u32 s0, s16, s22
	s_addc_u32 s6, s17, s23
	s_lshl_b64 s[22:23], s[18:19], 2
	s_add_u32 s0, s0, s22
	s_addc_u32 s6, s6, s23
	v_add3_u32 v4, v4, v5, v6
	v_lshlrev_b64 v[3:4], 2, v[3:4]
	v_add_co_u32 v3, s0, s0, v3
	v_add_co_ci_u32_e64 v4, null, s6, v4, s0
	global_load_dword v7, v[3:4], off
.LBB6_2:
	s_or_b32 exec_lo, exec_lo, s1
	s_load_dword s6, s[4:5], 0x6c
	s_mov_b32 s22, exec_lo
	v_cmpx_gt_i32_e64 s24, v1
	s_cbranch_execz .LBB6_8
; %bb.3:
	v_mad_u64_u32 v[4:5], null, s12, v1, 0
	v_mad_u64_u32 v[8:9], null, s20, v1, 0
	s_lshl_b64 s[0:1], s[2:3], 2
	s_lshl_b64 s[2:3], s[18:19], 2
	s_mul_i32 s15, s15, s7
	s_add_u32 s2, s16, s2
	v_mad_u64_u32 v[5:6], null, s13, v1, v[5:6]
	v_mov_b32_e32 v6, v9
	s_mul_hi_u32 s18, s14, s7
	s_addc_u32 s3, s17, s3
	s_add_u32 s16, s2, s0
	v_ashrrev_i32_e32 v3, 31, v2
	s_mul_i32 s14, s14, s7
	s_addc_u32 s17, s3, s1
	s_waitcnt vmcnt(0)
	v_mad_u64_u32 v[9:10], null, s21, v1, v[6:7]
	s_add_i32 s15, s18, s15
	v_lshlrev_b64 v[4:5], 2, v[4:5]
	s_lshl_b64 s[0:1], s[10:11], 2
	s_lshl_b64 s[10:11], s[14:15], 2
	;; [unrolled: 1-line block ×3, first 2 shown]
	s_add_u32 s0, s0, s10
	v_lshlrev_b64 v[10:11], 2, v[2:3]
	s_addc_u32 s1, s1, s11
	v_add_co_u32 v6, s0, s0, v4
	v_add_co_ci_u32_e64 v5, null, s1, v5, s0
	v_lshlrev_b64 v[3:4], 2, v[8:9]
	v_add_co_u32 v6, s0, v6, v10
	v_add_co_ci_u32_e64 v8, null, v5, v11, s0
	s_mov_b32 s10, 0
	v_add_co_u32 v3, s0, s16, v3
	v_add_co_ci_u32_e64 v4, null, s17, v4, s0
	v_add_co_u32 v5, s0, s8, v6
	v_add_co_ci_u32_e64 v6, null, s9, v8, s0
	v_mov_b32_e32 v8, v1
	s_lshl_b64 s[8:9], s[12:13], 6
	s_inst_prefetch 0x1
	s_branch .LBB6_5
	.p2align	6
.LBB6_4:                                ;   in Loop: Header=BB6_5 Depth=1
	s_or_b32 exec_lo, exec_lo, s0
	v_add_nc_u32_e32 v8, 16, v8
	v_add_co_u32 v3, s0, v3, s2
	v_add_co_ci_u32_e64 v4, null, s3, v4, s0
	v_cmp_le_i32_e64 s0, s24, v8
	v_add_co_u32 v5, s1, v5, s8
	v_add_co_ci_u32_e64 v6, null, s9, v6, s1
	s_or_b32 s10, s0, s10
	s_andn2_b32 exec_lo, exec_lo, s10
	s_cbranch_execz .LBB6_7
.LBB6_5:                                ; =>This Inner Loop Header: Depth=1
	v_cmp_lt_i32_e64 s0, v8, v2
	s_and_b32 s1, vcc_lo, s0
	s_and_saveexec_b32 s0, s1
	s_cbranch_execz .LBB6_4
; %bb.6:                                ;   in Loop: Header=BB6_5 Depth=1
	global_load_dword v9, v[5:6], off
	global_load_dword v10, v[3:4], off
	s_waitcnt vmcnt(0)
	v_fmac_f32_e32 v7, v9, v10
	s_branch .LBB6_4
.LBB6_7:
	s_inst_prefetch 0x2
	s_or_b32 exec_lo, exec_lo, s10
.LBB6_8:
	s_or_b32 exec_lo, exec_lo, s22
	v_lshlrev_b32_e32 v3, 2, v0
	s_waitcnt lgkmcnt(0)
	s_and_b32 s1, 0xffff, s6
	s_mov_b32 s2, exec_lo
	v_mad_u32_u24 v0, v1, s1, v0
	v_lshl_add_u32 v4, v1, 8, v3
	s_waitcnt vmcnt(0)
	ds_write_b32 v4, v7
	s_waitcnt lgkmcnt(0)
	s_barrier
	buffer_gl0_inv
	v_cmpx_gt_u32_e32 64, v0
	s_cbranch_execz .LBB6_11
; %bb.9:
	v_mul_u32_u24_e32 v0, s1, v1
	v_lshl_add_u32 v9, v0, 2, v3
	ds_read2st64_b32 v[0:1], v9 offset1:1
	ds_read2st64_b32 v[3:4], v9 offset0:2 offset1:3
	ds_read2st64_b32 v[5:6], v9 offset0:4 offset1:5
	;; [unrolled: 1-line block ×3, first 2 shown]
	s_waitcnt lgkmcnt(3)
	v_add_f32_e32 v0, v0, v1
	s_waitcnt lgkmcnt(2)
	v_add_f32_e32 v0, v3, v0
	v_add_f32_e32 v0, v4, v0
	s_waitcnt lgkmcnt(1)
	v_add_f32_e32 v3, v5, v0
	ds_read2st64_b32 v[0:1], v9 offset0:8 offset1:9
	v_add_f32_e32 v3, v6, v3
	s_waitcnt lgkmcnt(1)
	v_add_f32_e32 v5, v7, v3
	ds_read2st64_b32 v[3:4], v9 offset0:10 offset1:11
	v_add_f32_e32 v10, v8, v5
	ds_read2st64_b32 v[5:6], v9 offset0:12 offset1:13
	ds_read2st64_b32 v[7:8], v9 offset0:14 offset1:15
	s_waitcnt lgkmcnt(3)
	v_add_f32_e32 v0, v0, v10
	v_add_f32_e32 v0, v1, v0
	s_waitcnt lgkmcnt(2)
	v_add_f32_e32 v0, v3, v0
	v_add_f32_e32 v0, v4, v0
	;; [unrolled: 3-line block ×4, first 2 shown]
	ds_write_b32 v9, v0
	s_and_b32 exec_lo, exec_lo, vcc_lo
	s_cbranch_execz .LBB6_11
; %bb.10:
	s_load_dwordx4 s[0:3], s[4:5], 0x48
	v_ashrrev_i32_e32 v3, 31, v2
	v_lshlrev_b64 v[1:2], 2, v[2:3]
	s_waitcnt lgkmcnt(0)
	s_mul_i32 s3, s3, s7
	s_mul_hi_u32 s4, s2, s7
	s_mul_i32 s2, s2, s7
	s_add_i32 s3, s4, s3
	s_lshl_b64 s[2:3], s[2:3], 2
	s_add_u32 s0, s0, s2
	s_addc_u32 s1, s1, s3
	v_add_co_u32 v1, vcc_lo, s0, v1
	v_add_co_ci_u32_e64 v2, null, s1, v2, vcc_lo
	global_store_dword v[1:2], v0, off
.LBB6_11:
	s_endpgm
	.section	.rodata,"a",@progbits
	.p2align	6, 0x0
	.amdhsa_kernel _ZL20rocblas_trmvn_kernelILi64ELi16ELb1ELb1EPKfPfS2_EviT3_lllT4_lllT5_li
		.amdhsa_group_segment_fixed_size 4096
		.amdhsa_private_segment_fixed_size 0
		.amdhsa_kernarg_size 352
		.amdhsa_user_sgpr_count 6
		.amdhsa_user_sgpr_private_segment_buffer 1
		.amdhsa_user_sgpr_dispatch_ptr 0
		.amdhsa_user_sgpr_queue_ptr 0
		.amdhsa_user_sgpr_kernarg_segment_ptr 1
		.amdhsa_user_sgpr_dispatch_id 0
		.amdhsa_user_sgpr_flat_scratch_init 0
		.amdhsa_user_sgpr_private_segment_size 0
		.amdhsa_wavefront_size32 1
		.amdhsa_uses_dynamic_stack 0
		.amdhsa_system_sgpr_private_segment_wavefront_offset 0
		.amdhsa_system_sgpr_workgroup_id_x 1
		.amdhsa_system_sgpr_workgroup_id_y 0
		.amdhsa_system_sgpr_workgroup_id_z 1
		.amdhsa_system_sgpr_workgroup_info 0
		.amdhsa_system_vgpr_workitem_id 1
		.amdhsa_next_free_vgpr 12
		.amdhsa_next_free_sgpr 25
		.amdhsa_reserve_vcc 1
		.amdhsa_reserve_flat_scratch 0
		.amdhsa_float_round_mode_32 0
		.amdhsa_float_round_mode_16_64 0
		.amdhsa_float_denorm_mode_32 3
		.amdhsa_float_denorm_mode_16_64 3
		.amdhsa_dx10_clamp 1
		.amdhsa_ieee_mode 1
		.amdhsa_fp16_overflow 0
		.amdhsa_workgroup_processor_mode 1
		.amdhsa_memory_ordered 1
		.amdhsa_forward_progress 1
		.amdhsa_shared_vgpr_count 0
		.amdhsa_exception_fp_ieee_invalid_op 0
		.amdhsa_exception_fp_denorm_src 0
		.amdhsa_exception_fp_ieee_div_zero 0
		.amdhsa_exception_fp_ieee_overflow 0
		.amdhsa_exception_fp_ieee_underflow 0
		.amdhsa_exception_fp_ieee_inexact 0
		.amdhsa_exception_int_div_zero 0
	.end_amdhsa_kernel
	.section	.text._ZL20rocblas_trmvn_kernelILi64ELi16ELb1ELb1EPKfPfS2_EviT3_lllT4_lllT5_li,"axG",@progbits,_ZL20rocblas_trmvn_kernelILi64ELi16ELb1ELb1EPKfPfS2_EviT3_lllT4_lllT5_li,comdat
.Lfunc_end6:
	.size	_ZL20rocblas_trmvn_kernelILi64ELi16ELb1ELb1EPKfPfS2_EviT3_lllT4_lllT5_li, .Lfunc_end6-_ZL20rocblas_trmvn_kernelILi64ELi16ELb1ELb1EPKfPfS2_EviT3_lllT4_lllT5_li
                                        ; -- End function
	.set _ZL20rocblas_trmvn_kernelILi64ELi16ELb1ELb1EPKfPfS2_EviT3_lllT4_lllT5_li.num_vgpr, 12
	.set _ZL20rocblas_trmvn_kernelILi64ELi16ELb1ELb1EPKfPfS2_EviT3_lllT4_lllT5_li.num_agpr, 0
	.set _ZL20rocblas_trmvn_kernelILi64ELi16ELb1ELb1EPKfPfS2_EviT3_lllT4_lllT5_li.numbered_sgpr, 25
	.set _ZL20rocblas_trmvn_kernelILi64ELi16ELb1ELb1EPKfPfS2_EviT3_lllT4_lllT5_li.num_named_barrier, 0
	.set _ZL20rocblas_trmvn_kernelILi64ELi16ELb1ELb1EPKfPfS2_EviT3_lllT4_lllT5_li.private_seg_size, 0
	.set _ZL20rocblas_trmvn_kernelILi64ELi16ELb1ELb1EPKfPfS2_EviT3_lllT4_lllT5_li.uses_vcc, 1
	.set _ZL20rocblas_trmvn_kernelILi64ELi16ELb1ELb1EPKfPfS2_EviT3_lllT4_lllT5_li.uses_flat_scratch, 0
	.set _ZL20rocblas_trmvn_kernelILi64ELi16ELb1ELb1EPKfPfS2_EviT3_lllT4_lllT5_li.has_dyn_sized_stack, 0
	.set _ZL20rocblas_trmvn_kernelILi64ELi16ELb1ELb1EPKfPfS2_EviT3_lllT4_lllT5_li.has_recursion, 0
	.set _ZL20rocblas_trmvn_kernelILi64ELi16ELb1ELb1EPKfPfS2_EviT3_lllT4_lllT5_li.has_indirect_call, 0
	.section	.AMDGPU.csdata,"",@progbits
; Kernel info:
; codeLenInByte = 904
; TotalNumSgprs: 27
; NumVgprs: 12
; ScratchSize: 0
; MemoryBound: 0
; FloatMode: 240
; IeeeMode: 1
; LDSByteSize: 4096 bytes/workgroup (compile time only)
; SGPRBlocks: 0
; VGPRBlocks: 1
; NumSGPRsForWavesPerEU: 27
; NumVGPRsForWavesPerEU: 12
; Occupancy: 16
; WaveLimiterHint : 0
; COMPUTE_PGM_RSRC2:SCRATCH_EN: 0
; COMPUTE_PGM_RSRC2:USER_SGPR: 6
; COMPUTE_PGM_RSRC2:TRAP_HANDLER: 0
; COMPUTE_PGM_RSRC2:TGID_X_EN: 1
; COMPUTE_PGM_RSRC2:TGID_Y_EN: 0
; COMPUTE_PGM_RSRC2:TGID_Z_EN: 1
; COMPUTE_PGM_RSRC2:TIDIG_COMP_CNT: 1
	.section	.text._ZL20rocblas_trmvt_kernelILi512ELb1ELb0ELb1EPKfPfS2_EviT3_lllT4_lllT5_li,"axG",@progbits,_ZL20rocblas_trmvt_kernelILi512ELb1ELb0ELb1EPKfPfS2_EviT3_lllT4_lllT5_li,comdat
	.globl	_ZL20rocblas_trmvt_kernelILi512ELb1ELb0ELb1EPKfPfS2_EviT3_lllT4_lllT5_li ; -- Begin function _ZL20rocblas_trmvt_kernelILi512ELb1ELb0ELb1EPKfPfS2_EviT3_lllT4_lllT5_li
	.p2align	8
	.type	_ZL20rocblas_trmvt_kernelILi512ELb1ELb0ELb1EPKfPfS2_EviT3_lllT4_lllT5_li,@function
_ZL20rocblas_trmvt_kernelILi512ELb1ELb0ELb1EPKfPfS2_EviT3_lllT4_lllT5_li: ; @_ZL20rocblas_trmvt_kernelILi512ELb1ELb0ELb1EPKfPfS2_EviT3_lllT4_lllT5_li
; %bb.0:
	s_load_dwordx16 s[8:23], s[4:5], 0x8
	v_mov_b32_e32 v5, 0
	v_cmp_eq_u32_e32 vcc_lo, 0, v0
	s_mov_b32 s0, s7
	s_waitcnt lgkmcnt(0)
	s_mul_i32 s1, s23, s7
	s_mul_hi_u32 s3, s22, s7
	s_mul_i32 s2, s22, s7
	s_add_i32 s3, s3, s1
	s_ashr_i32 s7, s6, 31
	s_and_saveexec_b32 s1, vcc_lo
	s_cbranch_execz .LBB7_2
; %bb.1:
	s_lshl_b64 s[22:23], s[2:3], 2
	s_mul_i32 s26, s20, s7
	s_add_u32 s24, s16, s22
	s_addc_u32 s25, s17, s23
	s_lshl_b64 s[22:23], s[18:19], 2
	s_add_u32 s24, s24, s22
	s_mul_hi_u32 s22, s20, s6
	s_addc_u32 s25, s25, s23
	s_add_i32 s22, s22, s26
	s_mul_i32 s23, s21, s6
	s_add_i32 s23, s22, s23
	s_mul_i32 s22, s20, s6
	s_lshl_b64 s[22:23], s[22:23], 2
	s_add_u32 s22, s24, s22
	s_addc_u32 s23, s25, s23
	s_load_dword s22, s[22:23], 0x0
	s_waitcnt lgkmcnt(0)
	v_add_f32_e64 v5, s22, 0
.LBB7_2:
	s_or_b32 exec_lo, exec_lo, s1
	s_load_dword s23, s[4:5], 0x0
	s_waitcnt lgkmcnt(0)
	v_cmp_gt_i32_e64 s1, s23, v0
	s_and_saveexec_b32 s22, s1
	s_cbranch_execz .LBB7_8
; %bb.3:
	v_mad_u64_u32 v[3:4], null, s20, v0, 0
	s_mul_i32 s15, s15, s0
	s_mul_hi_u32 s24, s14, s0
	s_mul_i32 s14, s14, s0
	s_add_i32 s15, s24, s15
	v_cndmask_b32_e64 v2, 0, v0, s1
	s_lshl_b64 s[14:15], s[14:15], 2
	v_mov_b32_e32 v1, v4
	s_add_u32 s14, s8, s14
	s_addc_u32 s15, s9, s15
	s_lshl_b64 s[8:9], s[10:11], 2
	v_lshlrev_b32_e32 v4, 2, v2
	v_mad_u64_u32 v[1:2], null, s21, v0, v[1:2]
	s_add_u32 s10, s14, s8
	s_addc_u32 s1, s15, s9
	s_mul_i32 s8, s12, s7
	s_mul_hi_u32 s9, s12, s6
	v_add_co_u32 v2, s10, s10, v4
	s_add_i32 s8, s9, s8
	s_mul_i32 s9, s13, s6
	v_add_co_ci_u32_e64 v6, null, s1, 0, s10
	s_add_i32 s9, s8, s9
	s_mul_i32 s8, s12, s6
	v_mov_b32_e32 v4, v1
	s_lshl_b64 s[8:9], s[8:9], 2
	s_lshl_b64 s[2:3], s[2:3], 2
	v_add_co_u32 v1, s1, v2, s8
	v_add_co_ci_u32_e64 v2, null, s9, v6, s1
	s_lshl_b64 s[8:9], s[18:19], 2
	v_lshlrev_b64 v[3:4], 2, v[3:4]
	s_add_u32 s1, s16, s8
	s_addc_u32 s8, s17, s9
	s_add_u32 s1, s1, s2
	s_addc_u32 s2, s8, s3
	v_mov_b32_e32 v6, v0
	v_add_co_u32 v3, s1, s1, v3
	v_add_co_ci_u32_e64 v4, null, s2, v4, s1
	s_mov_b32 s3, 0
	s_lshl_b64 s[8:9], s[20:21], 11
	s_inst_prefetch 0x1
	s_branch .LBB7_5
	.p2align	6
.LBB7_4:                                ;   in Loop: Header=BB7_5 Depth=1
	s_or_b32 exec_lo, exec_lo, s2
	v_add_nc_u32_e32 v6, 0x200, v6
	v_add_co_u32 v1, s1, 0x800, v1
	v_add_co_ci_u32_e64 v2, null, 0, v2, s1
	v_cmp_le_i32_e64 s1, s23, v6
	v_add_co_u32 v3, s2, v3, s8
	v_add_co_ci_u32_e64 v4, null, s9, v4, s2
	s_or_b32 s3, s1, s3
	s_andn2_b32 exec_lo, exec_lo, s3
	s_cbranch_execz .LBB7_7
.LBB7_5:                                ; =>This Inner Loop Header: Depth=1
	s_mov_b32 s2, exec_lo
	v_cmpx_lt_i32_e64 s6, v6
	s_cbranch_execz .LBB7_4
; %bb.6:                                ;   in Loop: Header=BB7_5 Depth=1
	global_load_dword v7, v[1:2], off
	global_load_dword v8, v[3:4], off
	s_waitcnt vmcnt(0)
	v_fmac_f32_e32 v5, v7, v8
	s_branch .LBB7_4
.LBB7_7:
	s_inst_prefetch 0x2
	s_or_b32 exec_lo, exec_lo, s3
.LBB7_8:
	s_or_b32 exec_lo, exec_lo, s22
	v_and_b32_e32 v6, 31, v0
	v_cmp_gt_u32_e64 s1, 32, v0
	v_lshlrev_b32_e32 v1, 2, v6
	s_and_saveexec_b32 s2, s1
; %bb.9:
	v_mov_b32_e32 v2, 0
	ds_write_b32 v1, v2
; %bb.10:
	s_or_b32 exec_lo, exec_lo, s2
	v_mbcnt_lo_u32_b32 v7, -1, 0
	s_mov_b32 s3, exec_lo
	s_waitcnt lgkmcnt(0)
	s_barrier
	buffer_gl0_inv
	v_lshl_or_b32 v2, v7, 2, 64
	v_cmp_gt_u32_e64 s2, 24, v7
	ds_bpermute_b32 v3, v2, v5
	v_cndmask_b32_e64 v2, 0, 8, s2
	v_cmp_gt_u32_e64 s2, 28, v7
	v_add_lshl_u32 v2, v2, v7, 2
	s_waitcnt lgkmcnt(0)
	v_add_f32_e32 v4, v5, v3
	v_cndmask_b32_e64 v3, 0, 4, s2
	v_cmp_gt_u32_e64 s2, 30, v7
	ds_bpermute_b32 v5, v2, v4
	v_add_lshl_u32 v3, v3, v7, 2
	s_waitcnt lgkmcnt(0)
	v_add_f32_e32 v5, v4, v5
	v_cndmask_b32_e64 v4, 0, 2, s2
	v_cmp_ne_u32_e64 s2, 31, v7
	ds_bpermute_b32 v8, v3, v5
	v_add_lshl_u32 v4, v4, v7, 2
	v_add_co_ci_u32_e64 v9, null, 0, v7, s2
	s_waitcnt lgkmcnt(0)
	v_add_f32_e32 v5, v5, v8
	ds_bpermute_b32 v8, v4, v5
	s_waitcnt lgkmcnt(0)
	v_add_f32_e32 v7, v5, v8
	v_lshlrev_b32_e32 v5, 2, v9
	ds_bpermute_b32 v8, v5, v7
	v_cmpx_eq_u32_e32 0, v6
	s_cbranch_execz .LBB7_12
; %bb.11:
	v_lshrrev_b32_e32 v6, 3, v0
	s_waitcnt lgkmcnt(0)
	v_add_f32_e32 v7, v7, v8
	v_and_b32_e32 v6, 60, v6
	ds_write_b32 v6, v7
.LBB7_12:
	s_or_b32 exec_lo, exec_lo, s3
	v_cmp_gt_u32_e64 s2, 16, v0
	v_mov_b32_e32 v0, 0
	s_waitcnt lgkmcnt(0)
	s_barrier
	buffer_gl0_inv
	s_and_saveexec_b32 s3, s2
	s_cbranch_execnz .LBB7_16
; %bb.13:
	s_or_b32 exec_lo, exec_lo, s3
	s_and_saveexec_b32 s2, s1
	s_cbranch_execnz .LBB7_17
.LBB7_14:
	s_or_b32 exec_lo, exec_lo, s2
	s_and_saveexec_b32 s1, vcc_lo
	s_cbranch_execnz .LBB7_18
.LBB7_15:
	s_endpgm
.LBB7_16:
	ds_read_b32 v0, v1
	s_or_b32 exec_lo, exec_lo, s3
	s_and_saveexec_b32 s2, s1
	s_cbranch_execz .LBB7_14
.LBB7_17:
	s_waitcnt lgkmcnt(0)
	ds_bpermute_b32 v1, v2, v0
	s_waitcnt lgkmcnt(0)
	v_add_f32_e32 v0, v0, v1
	ds_bpermute_b32 v1, v3, v0
	s_waitcnt lgkmcnt(0)
	v_add_f32_e32 v0, v0, v1
	;; [unrolled: 3-line block ×4, first 2 shown]
	s_or_b32 exec_lo, exec_lo, s2
	s_and_saveexec_b32 s1, vcc_lo
	s_cbranch_execz .LBB7_15
.LBB7_18:
	s_load_dwordx4 s[8:11], s[4:5], 0x48
	v_mov_b32_e32 v1, 0
	s_waitcnt lgkmcnt(0)
	s_mul_i32 s1, s11, s0
	s_mul_hi_u32 s2, s10, s0
	s_mul_i32 s0, s10, s0
	s_add_i32 s1, s2, s1
	s_lshl_b64 s[0:1], s[0:1], 2
	s_add_u32 s2, s8, s0
	s_addc_u32 s3, s9, s1
	s_lshl_b64 s[0:1], s[6:7], 2
	s_add_u32 s0, s2, s0
	s_addc_u32 s1, s3, s1
	global_store_dword v1, v0, s[0:1]
	s_endpgm
	.section	.rodata,"a",@progbits
	.p2align	6, 0x0
	.amdhsa_kernel _ZL20rocblas_trmvt_kernelILi512ELb1ELb0ELb1EPKfPfS2_EviT3_lllT4_lllT5_li
		.amdhsa_group_segment_fixed_size 128
		.amdhsa_private_segment_fixed_size 0
		.amdhsa_kernarg_size 92
		.amdhsa_user_sgpr_count 6
		.amdhsa_user_sgpr_private_segment_buffer 1
		.amdhsa_user_sgpr_dispatch_ptr 0
		.amdhsa_user_sgpr_queue_ptr 0
		.amdhsa_user_sgpr_kernarg_segment_ptr 1
		.amdhsa_user_sgpr_dispatch_id 0
		.amdhsa_user_sgpr_flat_scratch_init 0
		.amdhsa_user_sgpr_private_segment_size 0
		.amdhsa_wavefront_size32 1
		.amdhsa_uses_dynamic_stack 0
		.amdhsa_system_sgpr_private_segment_wavefront_offset 0
		.amdhsa_system_sgpr_workgroup_id_x 1
		.amdhsa_system_sgpr_workgroup_id_y 0
		.amdhsa_system_sgpr_workgroup_id_z 1
		.amdhsa_system_sgpr_workgroup_info 0
		.amdhsa_system_vgpr_workitem_id 0
		.amdhsa_next_free_vgpr 10
		.amdhsa_next_free_sgpr 27
		.amdhsa_reserve_vcc 1
		.amdhsa_reserve_flat_scratch 0
		.amdhsa_float_round_mode_32 0
		.amdhsa_float_round_mode_16_64 0
		.amdhsa_float_denorm_mode_32 3
		.amdhsa_float_denorm_mode_16_64 3
		.amdhsa_dx10_clamp 1
		.amdhsa_ieee_mode 1
		.amdhsa_fp16_overflow 0
		.amdhsa_workgroup_processor_mode 1
		.amdhsa_memory_ordered 1
		.amdhsa_forward_progress 1
		.amdhsa_shared_vgpr_count 0
		.amdhsa_exception_fp_ieee_invalid_op 0
		.amdhsa_exception_fp_denorm_src 0
		.amdhsa_exception_fp_ieee_div_zero 0
		.amdhsa_exception_fp_ieee_overflow 0
		.amdhsa_exception_fp_ieee_underflow 0
		.amdhsa_exception_fp_ieee_inexact 0
		.amdhsa_exception_int_div_zero 0
	.end_amdhsa_kernel
	.section	.text._ZL20rocblas_trmvt_kernelILi512ELb1ELb0ELb1EPKfPfS2_EviT3_lllT4_lllT5_li,"axG",@progbits,_ZL20rocblas_trmvt_kernelILi512ELb1ELb0ELb1EPKfPfS2_EviT3_lllT4_lllT5_li,comdat
.Lfunc_end7:
	.size	_ZL20rocblas_trmvt_kernelILi512ELb1ELb0ELb1EPKfPfS2_EviT3_lllT4_lllT5_li, .Lfunc_end7-_ZL20rocblas_trmvt_kernelILi512ELb1ELb0ELb1EPKfPfS2_EviT3_lllT4_lllT5_li
                                        ; -- End function
	.set _ZL20rocblas_trmvt_kernelILi512ELb1ELb0ELb1EPKfPfS2_EviT3_lllT4_lllT5_li.num_vgpr, 10
	.set _ZL20rocblas_trmvt_kernelILi512ELb1ELb0ELb1EPKfPfS2_EviT3_lllT4_lllT5_li.num_agpr, 0
	.set _ZL20rocblas_trmvt_kernelILi512ELb1ELb0ELb1EPKfPfS2_EviT3_lllT4_lllT5_li.numbered_sgpr, 27
	.set _ZL20rocblas_trmvt_kernelILi512ELb1ELb0ELb1EPKfPfS2_EviT3_lllT4_lllT5_li.num_named_barrier, 0
	.set _ZL20rocblas_trmvt_kernelILi512ELb1ELb0ELb1EPKfPfS2_EviT3_lllT4_lllT5_li.private_seg_size, 0
	.set _ZL20rocblas_trmvt_kernelILi512ELb1ELb0ELb1EPKfPfS2_EviT3_lllT4_lllT5_li.uses_vcc, 1
	.set _ZL20rocblas_trmvt_kernelILi512ELb1ELb0ELb1EPKfPfS2_EviT3_lllT4_lllT5_li.uses_flat_scratch, 0
	.set _ZL20rocblas_trmvt_kernelILi512ELb1ELb0ELb1EPKfPfS2_EviT3_lllT4_lllT5_li.has_dyn_sized_stack, 0
	.set _ZL20rocblas_trmvt_kernelILi512ELb1ELb0ELb1EPKfPfS2_EviT3_lllT4_lllT5_li.has_recursion, 0
	.set _ZL20rocblas_trmvt_kernelILi512ELb1ELb0ELb1EPKfPfS2_EviT3_lllT4_lllT5_li.has_indirect_call, 0
	.section	.AMDGPU.csdata,"",@progbits
; Kernel info:
; codeLenInByte = 1012
; TotalNumSgprs: 29
; NumVgprs: 10
; ScratchSize: 0
; MemoryBound: 0
; FloatMode: 240
; IeeeMode: 1
; LDSByteSize: 128 bytes/workgroup (compile time only)
; SGPRBlocks: 0
; VGPRBlocks: 1
; NumSGPRsForWavesPerEU: 29
; NumVGPRsForWavesPerEU: 10
; Occupancy: 16
; WaveLimiterHint : 0
; COMPUTE_PGM_RSRC2:SCRATCH_EN: 0
; COMPUTE_PGM_RSRC2:USER_SGPR: 6
; COMPUTE_PGM_RSRC2:TRAP_HANDLER: 0
; COMPUTE_PGM_RSRC2:TGID_X_EN: 1
; COMPUTE_PGM_RSRC2:TGID_Y_EN: 0
; COMPUTE_PGM_RSRC2:TGID_Z_EN: 1
; COMPUTE_PGM_RSRC2:TIDIG_COMP_CNT: 0
	.section	.text._ZL20rocblas_trmvt_kernelILi512ELb1ELb1ELb1EPKfPfS2_EviT3_lllT4_lllT5_li,"axG",@progbits,_ZL20rocblas_trmvt_kernelILi512ELb1ELb1ELb1EPKfPfS2_EviT3_lllT4_lllT5_li,comdat
	.globl	_ZL20rocblas_trmvt_kernelILi512ELb1ELb1ELb1EPKfPfS2_EviT3_lllT4_lllT5_li ; -- Begin function _ZL20rocblas_trmvt_kernelILi512ELb1ELb1ELb1EPKfPfS2_EviT3_lllT4_lllT5_li
	.p2align	8
	.type	_ZL20rocblas_trmvt_kernelILi512ELb1ELb1ELb1EPKfPfS2_EviT3_lllT4_lllT5_li,@function
_ZL20rocblas_trmvt_kernelILi512ELb1ELb1ELb1EPKfPfS2_EviT3_lllT4_lllT5_li: ; @_ZL20rocblas_trmvt_kernelILi512ELb1ELb1ELb1EPKfPfS2_EviT3_lllT4_lllT5_li
; %bb.0:
	s_load_dwordx16 s[8:23], s[4:5], 0x8
	v_mov_b32_e32 v5, 0
	v_cmp_eq_u32_e32 vcc_lo, 0, v0
	s_mov_b32 s0, s7
	s_waitcnt lgkmcnt(0)
	s_mul_i32 s1, s23, s7
	s_mul_hi_u32 s3, s22, s7
	s_mul_i32 s2, s22, s7
	s_add_i32 s3, s3, s1
	s_ashr_i32 s7, s6, 31
	s_and_saveexec_b32 s1, vcc_lo
	s_cbranch_execz .LBB8_2
; %bb.1:
	s_lshl_b64 s[22:23], s[2:3], 2
	s_mul_i32 s26, s20, s7
	s_add_u32 s24, s16, s22
	s_addc_u32 s25, s17, s23
	s_lshl_b64 s[22:23], s[18:19], 2
	s_add_u32 s24, s24, s22
	s_mul_hi_u32 s22, s20, s6
	s_addc_u32 s25, s25, s23
	s_add_i32 s22, s22, s26
	s_mul_i32 s23, s21, s6
	s_add_i32 s23, s22, s23
	s_mul_i32 s22, s20, s6
	s_lshl_b64 s[22:23], s[22:23], 2
	s_add_u32 s22, s24, s22
	s_addc_u32 s23, s25, s23
	s_load_dword s22, s[22:23], 0x0
	s_waitcnt lgkmcnt(0)
	v_add_f32_e64 v5, s22, 0
.LBB8_2:
	s_or_b32 exec_lo, exec_lo, s1
	s_load_dword s23, s[4:5], 0x0
	s_waitcnt lgkmcnt(0)
	v_cmp_gt_i32_e64 s1, s23, v0
	s_and_saveexec_b32 s22, s1
	s_cbranch_execz .LBB8_8
; %bb.3:
	v_mad_u64_u32 v[3:4], null, s20, v0, 0
	s_mul_i32 s15, s15, s0
	s_mul_hi_u32 s24, s14, s0
	s_mul_i32 s14, s14, s0
	s_add_i32 s15, s24, s15
	v_cndmask_b32_e64 v2, 0, v0, s1
	s_lshl_b64 s[14:15], s[14:15], 2
	v_mov_b32_e32 v1, v4
	s_add_u32 s14, s8, s14
	s_addc_u32 s15, s9, s15
	s_lshl_b64 s[8:9], s[10:11], 2
	v_lshlrev_b32_e32 v4, 2, v2
	v_mad_u64_u32 v[1:2], null, s21, v0, v[1:2]
	s_add_u32 s10, s14, s8
	s_addc_u32 s1, s15, s9
	s_mul_i32 s8, s12, s7
	s_mul_hi_u32 s9, s12, s6
	v_add_co_u32 v2, s10, s10, v4
	s_add_i32 s8, s9, s8
	s_mul_i32 s9, s13, s6
	v_add_co_ci_u32_e64 v6, null, s1, 0, s10
	s_add_i32 s9, s8, s9
	s_mul_i32 s8, s12, s6
	v_mov_b32_e32 v4, v1
	s_lshl_b64 s[8:9], s[8:9], 2
	s_lshl_b64 s[2:3], s[2:3], 2
	v_add_co_u32 v1, s1, v2, s8
	v_add_co_ci_u32_e64 v2, null, s9, v6, s1
	s_lshl_b64 s[8:9], s[18:19], 2
	v_lshlrev_b64 v[3:4], 2, v[3:4]
	s_add_u32 s1, s16, s8
	s_addc_u32 s8, s17, s9
	s_add_u32 s1, s1, s2
	s_addc_u32 s2, s8, s3
	v_mov_b32_e32 v6, v0
	v_add_co_u32 v3, s1, s1, v3
	v_add_co_ci_u32_e64 v4, null, s2, v4, s1
	s_mov_b32 s3, 0
	s_lshl_b64 s[8:9], s[20:21], 11
	s_inst_prefetch 0x1
	s_branch .LBB8_5
	.p2align	6
.LBB8_4:                                ;   in Loop: Header=BB8_5 Depth=1
	s_or_b32 exec_lo, exec_lo, s2
	v_add_nc_u32_e32 v6, 0x200, v6
	v_add_co_u32 v1, s1, 0x800, v1
	v_add_co_ci_u32_e64 v2, null, 0, v2, s1
	v_cmp_le_i32_e64 s1, s23, v6
	v_add_co_u32 v3, s2, v3, s8
	v_add_co_ci_u32_e64 v4, null, s9, v4, s2
	s_or_b32 s3, s1, s3
	s_andn2_b32 exec_lo, exec_lo, s3
	s_cbranch_execz .LBB8_7
.LBB8_5:                                ; =>This Inner Loop Header: Depth=1
	s_mov_b32 s2, exec_lo
	v_cmpx_lt_i32_e64 s6, v6
	s_cbranch_execz .LBB8_4
; %bb.6:                                ;   in Loop: Header=BB8_5 Depth=1
	global_load_dword v7, v[1:2], off
	global_load_dword v8, v[3:4], off
	s_waitcnt vmcnt(0)
	v_fmac_f32_e32 v5, v7, v8
	s_branch .LBB8_4
.LBB8_7:
	s_inst_prefetch 0x2
	s_or_b32 exec_lo, exec_lo, s3
.LBB8_8:
	s_or_b32 exec_lo, exec_lo, s22
	v_and_b32_e32 v6, 31, v0
	v_cmp_gt_u32_e64 s1, 32, v0
	v_lshlrev_b32_e32 v1, 2, v6
	s_and_saveexec_b32 s2, s1
; %bb.9:
	v_mov_b32_e32 v2, 0
	ds_write_b32 v1, v2
; %bb.10:
	s_or_b32 exec_lo, exec_lo, s2
	v_mbcnt_lo_u32_b32 v7, -1, 0
	s_mov_b32 s3, exec_lo
	s_waitcnt lgkmcnt(0)
	s_barrier
	buffer_gl0_inv
	v_lshl_or_b32 v2, v7, 2, 64
	v_cmp_gt_u32_e64 s2, 24, v7
	ds_bpermute_b32 v3, v2, v5
	v_cndmask_b32_e64 v2, 0, 8, s2
	v_cmp_gt_u32_e64 s2, 28, v7
	v_add_lshl_u32 v2, v2, v7, 2
	s_waitcnt lgkmcnt(0)
	v_add_f32_e32 v4, v5, v3
	v_cndmask_b32_e64 v3, 0, 4, s2
	v_cmp_gt_u32_e64 s2, 30, v7
	ds_bpermute_b32 v5, v2, v4
	v_add_lshl_u32 v3, v3, v7, 2
	s_waitcnt lgkmcnt(0)
	v_add_f32_e32 v5, v4, v5
	v_cndmask_b32_e64 v4, 0, 2, s2
	v_cmp_ne_u32_e64 s2, 31, v7
	ds_bpermute_b32 v8, v3, v5
	v_add_lshl_u32 v4, v4, v7, 2
	v_add_co_ci_u32_e64 v9, null, 0, v7, s2
	s_waitcnt lgkmcnt(0)
	v_add_f32_e32 v5, v5, v8
	ds_bpermute_b32 v8, v4, v5
	s_waitcnt lgkmcnt(0)
	v_add_f32_e32 v7, v5, v8
	v_lshlrev_b32_e32 v5, 2, v9
	ds_bpermute_b32 v8, v5, v7
	v_cmpx_eq_u32_e32 0, v6
	s_cbranch_execz .LBB8_12
; %bb.11:
	v_lshrrev_b32_e32 v6, 3, v0
	s_waitcnt lgkmcnt(0)
	v_add_f32_e32 v7, v7, v8
	v_and_b32_e32 v6, 60, v6
	ds_write_b32 v6, v7
.LBB8_12:
	s_or_b32 exec_lo, exec_lo, s3
	v_cmp_gt_u32_e64 s2, 16, v0
	v_mov_b32_e32 v0, 0
	s_waitcnt lgkmcnt(0)
	s_barrier
	buffer_gl0_inv
	s_and_saveexec_b32 s3, s2
	s_cbranch_execnz .LBB8_16
; %bb.13:
	s_or_b32 exec_lo, exec_lo, s3
	s_and_saveexec_b32 s2, s1
	s_cbranch_execnz .LBB8_17
.LBB8_14:
	s_or_b32 exec_lo, exec_lo, s2
	s_and_saveexec_b32 s1, vcc_lo
	s_cbranch_execnz .LBB8_18
.LBB8_15:
	s_endpgm
.LBB8_16:
	ds_read_b32 v0, v1
	s_or_b32 exec_lo, exec_lo, s3
	s_and_saveexec_b32 s2, s1
	s_cbranch_execz .LBB8_14
.LBB8_17:
	s_waitcnt lgkmcnt(0)
	ds_bpermute_b32 v1, v2, v0
	s_waitcnt lgkmcnt(0)
	v_add_f32_e32 v0, v0, v1
	ds_bpermute_b32 v1, v3, v0
	s_waitcnt lgkmcnt(0)
	v_add_f32_e32 v0, v0, v1
	;; [unrolled: 3-line block ×4, first 2 shown]
	s_or_b32 exec_lo, exec_lo, s2
	s_and_saveexec_b32 s1, vcc_lo
	s_cbranch_execz .LBB8_15
.LBB8_18:
	s_load_dwordx4 s[8:11], s[4:5], 0x48
	v_mov_b32_e32 v1, 0
	s_waitcnt lgkmcnt(0)
	s_mul_i32 s1, s11, s0
	s_mul_hi_u32 s2, s10, s0
	s_mul_i32 s0, s10, s0
	s_add_i32 s1, s2, s1
	s_lshl_b64 s[0:1], s[0:1], 2
	s_add_u32 s2, s8, s0
	s_addc_u32 s3, s9, s1
	s_lshl_b64 s[0:1], s[6:7], 2
	s_add_u32 s0, s2, s0
	s_addc_u32 s1, s3, s1
	global_store_dword v1, v0, s[0:1]
	s_endpgm
	.section	.rodata,"a",@progbits
	.p2align	6, 0x0
	.amdhsa_kernel _ZL20rocblas_trmvt_kernelILi512ELb1ELb1ELb1EPKfPfS2_EviT3_lllT4_lllT5_li
		.amdhsa_group_segment_fixed_size 128
		.amdhsa_private_segment_fixed_size 0
		.amdhsa_kernarg_size 92
		.amdhsa_user_sgpr_count 6
		.amdhsa_user_sgpr_private_segment_buffer 1
		.amdhsa_user_sgpr_dispatch_ptr 0
		.amdhsa_user_sgpr_queue_ptr 0
		.amdhsa_user_sgpr_kernarg_segment_ptr 1
		.amdhsa_user_sgpr_dispatch_id 0
		.amdhsa_user_sgpr_flat_scratch_init 0
		.amdhsa_user_sgpr_private_segment_size 0
		.amdhsa_wavefront_size32 1
		.amdhsa_uses_dynamic_stack 0
		.amdhsa_system_sgpr_private_segment_wavefront_offset 0
		.amdhsa_system_sgpr_workgroup_id_x 1
		.amdhsa_system_sgpr_workgroup_id_y 0
		.amdhsa_system_sgpr_workgroup_id_z 1
		.amdhsa_system_sgpr_workgroup_info 0
		.amdhsa_system_vgpr_workitem_id 0
		.amdhsa_next_free_vgpr 10
		.amdhsa_next_free_sgpr 27
		.amdhsa_reserve_vcc 1
		.amdhsa_reserve_flat_scratch 0
		.amdhsa_float_round_mode_32 0
		.amdhsa_float_round_mode_16_64 0
		.amdhsa_float_denorm_mode_32 3
		.amdhsa_float_denorm_mode_16_64 3
		.amdhsa_dx10_clamp 1
		.amdhsa_ieee_mode 1
		.amdhsa_fp16_overflow 0
		.amdhsa_workgroup_processor_mode 1
		.amdhsa_memory_ordered 1
		.amdhsa_forward_progress 1
		.amdhsa_shared_vgpr_count 0
		.amdhsa_exception_fp_ieee_invalid_op 0
		.amdhsa_exception_fp_denorm_src 0
		.amdhsa_exception_fp_ieee_div_zero 0
		.amdhsa_exception_fp_ieee_overflow 0
		.amdhsa_exception_fp_ieee_underflow 0
		.amdhsa_exception_fp_ieee_inexact 0
		.amdhsa_exception_int_div_zero 0
	.end_amdhsa_kernel
	.section	.text._ZL20rocblas_trmvt_kernelILi512ELb1ELb1ELb1EPKfPfS2_EviT3_lllT4_lllT5_li,"axG",@progbits,_ZL20rocblas_trmvt_kernelILi512ELb1ELb1ELb1EPKfPfS2_EviT3_lllT4_lllT5_li,comdat
.Lfunc_end8:
	.size	_ZL20rocblas_trmvt_kernelILi512ELb1ELb1ELb1EPKfPfS2_EviT3_lllT4_lllT5_li, .Lfunc_end8-_ZL20rocblas_trmvt_kernelILi512ELb1ELb1ELb1EPKfPfS2_EviT3_lllT4_lllT5_li
                                        ; -- End function
	.set _ZL20rocblas_trmvt_kernelILi512ELb1ELb1ELb1EPKfPfS2_EviT3_lllT4_lllT5_li.num_vgpr, 10
	.set _ZL20rocblas_trmvt_kernelILi512ELb1ELb1ELb1EPKfPfS2_EviT3_lllT4_lllT5_li.num_agpr, 0
	.set _ZL20rocblas_trmvt_kernelILi512ELb1ELb1ELb1EPKfPfS2_EviT3_lllT4_lllT5_li.numbered_sgpr, 27
	.set _ZL20rocblas_trmvt_kernelILi512ELb1ELb1ELb1EPKfPfS2_EviT3_lllT4_lllT5_li.num_named_barrier, 0
	.set _ZL20rocblas_trmvt_kernelILi512ELb1ELb1ELb1EPKfPfS2_EviT3_lllT4_lllT5_li.private_seg_size, 0
	.set _ZL20rocblas_trmvt_kernelILi512ELb1ELb1ELb1EPKfPfS2_EviT3_lllT4_lllT5_li.uses_vcc, 1
	.set _ZL20rocblas_trmvt_kernelILi512ELb1ELb1ELb1EPKfPfS2_EviT3_lllT4_lllT5_li.uses_flat_scratch, 0
	.set _ZL20rocblas_trmvt_kernelILi512ELb1ELb1ELb1EPKfPfS2_EviT3_lllT4_lllT5_li.has_dyn_sized_stack, 0
	.set _ZL20rocblas_trmvt_kernelILi512ELb1ELb1ELb1EPKfPfS2_EviT3_lllT4_lllT5_li.has_recursion, 0
	.set _ZL20rocblas_trmvt_kernelILi512ELb1ELb1ELb1EPKfPfS2_EviT3_lllT4_lllT5_li.has_indirect_call, 0
	.section	.AMDGPU.csdata,"",@progbits
; Kernel info:
; codeLenInByte = 1012
; TotalNumSgprs: 29
; NumVgprs: 10
; ScratchSize: 0
; MemoryBound: 0
; FloatMode: 240
; IeeeMode: 1
; LDSByteSize: 128 bytes/workgroup (compile time only)
; SGPRBlocks: 0
; VGPRBlocks: 1
; NumSGPRsForWavesPerEU: 29
; NumVGPRsForWavesPerEU: 10
; Occupancy: 16
; WaveLimiterHint : 0
; COMPUTE_PGM_RSRC2:SCRATCH_EN: 0
; COMPUTE_PGM_RSRC2:USER_SGPR: 6
; COMPUTE_PGM_RSRC2:TRAP_HANDLER: 0
; COMPUTE_PGM_RSRC2:TGID_X_EN: 1
; COMPUTE_PGM_RSRC2:TGID_Y_EN: 0
; COMPUTE_PGM_RSRC2:TGID_Z_EN: 1
; COMPUTE_PGM_RSRC2:TIDIG_COMP_CNT: 0
	.section	.text._ZL20rocblas_trmvn_kernelILi64ELi16ELb1ELb0EPKfPfS2_EviT3_lllT4_lllT5_li,"axG",@progbits,_ZL20rocblas_trmvn_kernelILi64ELi16ELb1ELb0EPKfPfS2_EviT3_lllT4_lllT5_li,comdat
	.globl	_ZL20rocblas_trmvn_kernelILi64ELi16ELb1ELb0EPKfPfS2_EviT3_lllT4_lllT5_li ; -- Begin function _ZL20rocblas_trmvn_kernelILi64ELi16ELb1ELb0EPKfPfS2_EviT3_lllT4_lllT5_li
	.p2align	8
	.type	_ZL20rocblas_trmvn_kernelILi64ELi16ELb1ELb0EPKfPfS2_EviT3_lllT4_lllT5_li,@function
_ZL20rocblas_trmvn_kernelILi64ELi16ELb1ELb0EPKfPfS2_EviT3_lllT4_lllT5_li: ; @_ZL20rocblas_trmvn_kernelILi64ELi16ELb1ELb0EPKfPfS2_EviT3_lllT4_lllT5_li
; %bb.0:
	s_clause 0x1
	s_load_dwordx16 s[8:23], s[4:5], 0x8
	s_load_dword s24, s[4:5], 0x0
	v_lshl_add_u32 v2, s6, 6, v0
	v_cmp_eq_u32_e64 s0, 0, v1
	v_mov_b32_e32 v7, 0
	s_waitcnt lgkmcnt(0)
	s_mul_i32 s1, s15, s7
	v_cmp_gt_i32_e32 vcc_lo, s24, v2
	s_mul_hi_u32 s3, s14, s7
	s_mul_i32 s2, s14, s7
	s_mul_i32 s6, s23, s7
	s_mul_hi_u32 s14, s22, s7
	s_add_i32 s3, s3, s1
	s_add_i32 s15, s14, s6
	s_mul_i32 s14, s22, s7
	s_and_b32 s0, s0, vcc_lo
	s_and_saveexec_b32 s1, s0
	s_cbranch_execz .LBB9_2
; %bb.1:
	v_ashrrev_i32_e32 v3, 31, v2
	v_mul_lo_u32 v8, v2, s13
	v_mul_lo_u32 v10, s21, v2
	v_mad_u64_u32 v[6:7], null, s20, v2, 0
	v_mul_lo_u32 v9, v3, s12
	v_mad_u64_u32 v[4:5], null, v2, s12, v[2:3]
	v_mul_lo_u32 v3, s20, v3
	s_lshl_b64 s[22:23], s[2:3], 2
	s_add_u32 s0, s8, s22
	s_addc_u32 s6, s9, s23
	s_lshl_b64 s[22:23], s[10:11], 2
	v_add3_u32 v5, v9, v5, v8
	s_add_u32 s0, s0, s22
	v_add3_u32 v7, v7, v3, v10
	s_addc_u32 s6, s6, s23
	s_lshl_b64 s[22:23], s[14:15], 2
	v_lshlrev_b64 v[3:4], 2, v[4:5]
	s_add_u32 s25, s16, s22
	v_lshlrev_b64 v[5:6], 2, v[6:7]
	s_addc_u32 s26, s17, s23
	s_lshl_b64 s[22:23], s[18:19], 2
	s_add_u32 s22, s25, s22
	v_add_co_u32 v3, s0, s0, v3
	s_addc_u32 s23, s26, s23
	v_add_co_ci_u32_e64 v4, null, s6, v4, s0
	v_add_co_u32 v5, s0, s22, v5
	v_add_co_ci_u32_e64 v6, null, s23, v6, s0
	global_load_dword v3, v[3:4], off
	global_load_dword v4, v[5:6], off
	s_waitcnt vmcnt(0)
	v_mul_f32_e32 v7, v3, v4
.LBB9_2:
	s_or_b32 exec_lo, exec_lo, s1
	s_load_dword s6, s[4:5], 0x6c
	s_mov_b32 s22, exec_lo
	v_cmpx_gt_i32_e64 s24, v1
	s_cbranch_execz .LBB9_8
; %bb.3:
	v_mad_u64_u32 v[4:5], null, s12, v1, 0
	v_mad_u64_u32 v[8:9], null, s20, v1, 0
	s_lshl_b64 s[0:1], s[18:19], 2
	s_lshl_b64 s[14:15], s[14:15], 2
	s_add_u32 s0, s16, s0
	v_ashrrev_i32_e32 v3, 31, v2
	v_mad_u64_u32 v[5:6], null, s13, v1, v[5:6]
	v_mov_b32_e32 v6, v9
	s_addc_u32 s1, s17, s1
	s_add_u32 s16, s0, s14
	s_addc_u32 s17, s1, s15
	s_lshl_b64 s[0:1], s[2:3], 2
	v_mad_u64_u32 v[9:10], null, s21, v1, v[6:7]
	v_lshlrev_b64 v[4:5], 2, v[4:5]
	s_lshl_b64 s[2:3], s[10:11], 2
	s_lshl_b64 s[14:15], s[20:21], 6
	s_add_u32 s0, s2, s0
	v_lshlrev_b64 v[10:11], 2, v[2:3]
	s_addc_u32 s1, s3, s1
	v_add_co_u32 v6, s0, s0, v4
	v_add_co_ci_u32_e64 v5, null, s1, v5, s0
	v_lshlrev_b64 v[3:4], 2, v[8:9]
	v_add_co_u32 v6, s0, v6, v10
	v_add_co_ci_u32_e64 v8, null, v5, v11, s0
	s_lshl_b64 s[2:3], s[12:13], 6
	v_add_co_u32 v3, s0, s16, v3
	v_add_co_ci_u32_e64 v4, null, s17, v4, s0
	v_add_co_u32 v5, s0, s8, v6
	v_add_co_ci_u32_e64 v6, null, s9, v8, s0
	v_mov_b32_e32 v8, v1
	s_mov_b32 s8, 0
	s_inst_prefetch 0x1
	s_branch .LBB9_5
	.p2align	6
.LBB9_4:                                ;   in Loop: Header=BB9_5 Depth=1
	s_or_b32 exec_lo, exec_lo, s0
	v_add_nc_u32_e32 v8, 16, v8
	v_add_co_u32 v3, s0, v3, s14
	v_add_co_ci_u32_e64 v4, null, s15, v4, s0
	v_cmp_le_i32_e64 s0, s24, v8
	v_add_co_u32 v5, s1, v5, s2
	v_add_co_ci_u32_e64 v6, null, s3, v6, s1
	s_or_b32 s8, s0, s8
	s_andn2_b32 exec_lo, exec_lo, s8
	s_cbranch_execz .LBB9_7
.LBB9_5:                                ; =>This Inner Loop Header: Depth=1
	v_cmp_lt_i32_e64 s0, v8, v2
	s_and_b32 s1, vcc_lo, s0
	s_and_saveexec_b32 s0, s1
	s_cbranch_execz .LBB9_4
; %bb.6:                                ;   in Loop: Header=BB9_5 Depth=1
	global_load_dword v9, v[5:6], off
	global_load_dword v10, v[3:4], off
	s_waitcnt vmcnt(0)
	v_fmac_f32_e32 v7, v9, v10
	s_branch .LBB9_4
.LBB9_7:
	s_inst_prefetch 0x2
	s_or_b32 exec_lo, exec_lo, s8
.LBB9_8:
	s_or_b32 exec_lo, exec_lo, s22
	v_lshlrev_b32_e32 v3, 2, v0
	s_waitcnt lgkmcnt(0)
	s_and_b32 s1, 0xffff, s6
	s_mov_b32 s2, exec_lo
	v_mad_u32_u24 v0, v1, s1, v0
	v_lshl_add_u32 v4, v1, 8, v3
	ds_write_b32 v4, v7
	s_waitcnt lgkmcnt(0)
	s_barrier
	buffer_gl0_inv
	v_cmpx_gt_u32_e32 64, v0
	s_cbranch_execz .LBB9_11
; %bb.9:
	v_mul_u32_u24_e32 v0, s1, v1
	v_lshl_add_u32 v9, v0, 2, v3
	ds_read2st64_b32 v[0:1], v9 offset1:1
	ds_read2st64_b32 v[3:4], v9 offset0:2 offset1:3
	ds_read2st64_b32 v[5:6], v9 offset0:4 offset1:5
	;; [unrolled: 1-line block ×3, first 2 shown]
	s_waitcnt lgkmcnt(3)
	v_add_f32_e32 v0, v0, v1
	s_waitcnt lgkmcnt(2)
	v_add_f32_e32 v0, v3, v0
	v_add_f32_e32 v0, v4, v0
	s_waitcnt lgkmcnt(1)
	v_add_f32_e32 v3, v5, v0
	ds_read2st64_b32 v[0:1], v9 offset0:8 offset1:9
	v_add_f32_e32 v3, v6, v3
	s_waitcnt lgkmcnt(1)
	v_add_f32_e32 v5, v7, v3
	ds_read2st64_b32 v[3:4], v9 offset0:10 offset1:11
	v_add_f32_e32 v10, v8, v5
	ds_read2st64_b32 v[5:6], v9 offset0:12 offset1:13
	ds_read2st64_b32 v[7:8], v9 offset0:14 offset1:15
	s_waitcnt lgkmcnt(3)
	v_add_f32_e32 v0, v0, v10
	v_add_f32_e32 v0, v1, v0
	s_waitcnt lgkmcnt(2)
	v_add_f32_e32 v0, v3, v0
	v_add_f32_e32 v0, v4, v0
	;; [unrolled: 3-line block ×4, first 2 shown]
	ds_write_b32 v9, v0
	s_and_b32 exec_lo, exec_lo, vcc_lo
	s_cbranch_execz .LBB9_11
; %bb.10:
	s_load_dwordx4 s[0:3], s[4:5], 0x48
	v_ashrrev_i32_e32 v3, 31, v2
	v_lshlrev_b64 v[1:2], 2, v[2:3]
	s_waitcnt lgkmcnt(0)
	s_mul_i32 s3, s3, s7
	s_mul_hi_u32 s4, s2, s7
	s_mul_i32 s2, s2, s7
	s_add_i32 s3, s4, s3
	s_lshl_b64 s[2:3], s[2:3], 2
	s_add_u32 s0, s0, s2
	s_addc_u32 s1, s1, s3
	v_add_co_u32 v1, vcc_lo, s0, v1
	v_add_co_ci_u32_e64 v2, null, s1, v2, vcc_lo
	global_store_dword v[1:2], v0, off
.LBB9_11:
	s_endpgm
	.section	.rodata,"a",@progbits
	.p2align	6, 0x0
	.amdhsa_kernel _ZL20rocblas_trmvn_kernelILi64ELi16ELb1ELb0EPKfPfS2_EviT3_lllT4_lllT5_li
		.amdhsa_group_segment_fixed_size 4096
		.amdhsa_private_segment_fixed_size 0
		.amdhsa_kernarg_size 352
		.amdhsa_user_sgpr_count 6
		.amdhsa_user_sgpr_private_segment_buffer 1
		.amdhsa_user_sgpr_dispatch_ptr 0
		.amdhsa_user_sgpr_queue_ptr 0
		.amdhsa_user_sgpr_kernarg_segment_ptr 1
		.amdhsa_user_sgpr_dispatch_id 0
		.amdhsa_user_sgpr_flat_scratch_init 0
		.amdhsa_user_sgpr_private_segment_size 0
		.amdhsa_wavefront_size32 1
		.amdhsa_uses_dynamic_stack 0
		.amdhsa_system_sgpr_private_segment_wavefront_offset 0
		.amdhsa_system_sgpr_workgroup_id_x 1
		.amdhsa_system_sgpr_workgroup_id_y 0
		.amdhsa_system_sgpr_workgroup_id_z 1
		.amdhsa_system_sgpr_workgroup_info 0
		.amdhsa_system_vgpr_workitem_id 1
		.amdhsa_next_free_vgpr 12
		.amdhsa_next_free_sgpr 27
		.amdhsa_reserve_vcc 1
		.amdhsa_reserve_flat_scratch 0
		.amdhsa_float_round_mode_32 0
		.amdhsa_float_round_mode_16_64 0
		.amdhsa_float_denorm_mode_32 3
		.amdhsa_float_denorm_mode_16_64 3
		.amdhsa_dx10_clamp 1
		.amdhsa_ieee_mode 1
		.amdhsa_fp16_overflow 0
		.amdhsa_workgroup_processor_mode 1
		.amdhsa_memory_ordered 1
		.amdhsa_forward_progress 1
		.amdhsa_shared_vgpr_count 0
		.amdhsa_exception_fp_ieee_invalid_op 0
		.amdhsa_exception_fp_denorm_src 0
		.amdhsa_exception_fp_ieee_div_zero 0
		.amdhsa_exception_fp_ieee_overflow 0
		.amdhsa_exception_fp_ieee_underflow 0
		.amdhsa_exception_fp_ieee_inexact 0
		.amdhsa_exception_int_div_zero 0
	.end_amdhsa_kernel
	.section	.text._ZL20rocblas_trmvn_kernelILi64ELi16ELb1ELb0EPKfPfS2_EviT3_lllT4_lllT5_li,"axG",@progbits,_ZL20rocblas_trmvn_kernelILi64ELi16ELb1ELb0EPKfPfS2_EviT3_lllT4_lllT5_li,comdat
.Lfunc_end9:
	.size	_ZL20rocblas_trmvn_kernelILi64ELi16ELb1ELb0EPKfPfS2_EviT3_lllT4_lllT5_li, .Lfunc_end9-_ZL20rocblas_trmvn_kernelILi64ELi16ELb1ELb0EPKfPfS2_EviT3_lllT4_lllT5_li
                                        ; -- End function
	.set _ZL20rocblas_trmvn_kernelILi64ELi16ELb1ELb0EPKfPfS2_EviT3_lllT4_lllT5_li.num_vgpr, 12
	.set _ZL20rocblas_trmvn_kernelILi64ELi16ELb1ELb0EPKfPfS2_EviT3_lllT4_lllT5_li.num_agpr, 0
	.set _ZL20rocblas_trmvn_kernelILi64ELi16ELb1ELb0EPKfPfS2_EviT3_lllT4_lllT5_li.numbered_sgpr, 27
	.set _ZL20rocblas_trmvn_kernelILi64ELi16ELb1ELb0EPKfPfS2_EviT3_lllT4_lllT5_li.num_named_barrier, 0
	.set _ZL20rocblas_trmvn_kernelILi64ELi16ELb1ELb0EPKfPfS2_EviT3_lllT4_lllT5_li.private_seg_size, 0
	.set _ZL20rocblas_trmvn_kernelILi64ELi16ELb1ELb0EPKfPfS2_EviT3_lllT4_lllT5_li.uses_vcc, 1
	.set _ZL20rocblas_trmvn_kernelILi64ELi16ELb1ELb0EPKfPfS2_EviT3_lllT4_lllT5_li.uses_flat_scratch, 0
	.set _ZL20rocblas_trmvn_kernelILi64ELi16ELb1ELb0EPKfPfS2_EviT3_lllT4_lllT5_li.has_dyn_sized_stack, 0
	.set _ZL20rocblas_trmvn_kernelILi64ELi16ELb1ELb0EPKfPfS2_EviT3_lllT4_lllT5_li.has_recursion, 0
	.set _ZL20rocblas_trmvn_kernelILi64ELi16ELb1ELb0EPKfPfS2_EviT3_lllT4_lllT5_li.has_indirect_call, 0
	.section	.AMDGPU.csdata,"",@progbits
; Kernel info:
; codeLenInByte = 964
; TotalNumSgprs: 29
; NumVgprs: 12
; ScratchSize: 0
; MemoryBound: 0
; FloatMode: 240
; IeeeMode: 1
; LDSByteSize: 4096 bytes/workgroup (compile time only)
; SGPRBlocks: 0
; VGPRBlocks: 1
; NumSGPRsForWavesPerEU: 29
; NumVGPRsForWavesPerEU: 12
; Occupancy: 16
; WaveLimiterHint : 0
; COMPUTE_PGM_RSRC2:SCRATCH_EN: 0
; COMPUTE_PGM_RSRC2:USER_SGPR: 6
; COMPUTE_PGM_RSRC2:TRAP_HANDLER: 0
; COMPUTE_PGM_RSRC2:TGID_X_EN: 1
; COMPUTE_PGM_RSRC2:TGID_Y_EN: 0
; COMPUTE_PGM_RSRC2:TGID_Z_EN: 1
; COMPUTE_PGM_RSRC2:TIDIG_COMP_CNT: 1
	.section	.text._ZL20rocblas_trmvt_kernelILi512ELb1ELb0ELb0EPKfPfS2_EviT3_lllT4_lllT5_li,"axG",@progbits,_ZL20rocblas_trmvt_kernelILi512ELb1ELb0ELb0EPKfPfS2_EviT3_lllT4_lllT5_li,comdat
	.globl	_ZL20rocblas_trmvt_kernelILi512ELb1ELb0ELb0EPKfPfS2_EviT3_lllT4_lllT5_li ; -- Begin function _ZL20rocblas_trmvt_kernelILi512ELb1ELb0ELb0EPKfPfS2_EviT3_lllT4_lllT5_li
	.p2align	8
	.type	_ZL20rocblas_trmvt_kernelILi512ELb1ELb0ELb0EPKfPfS2_EviT3_lllT4_lllT5_li,@function
_ZL20rocblas_trmvt_kernelILi512ELb1ELb0ELb0EPKfPfS2_EviT3_lllT4_lllT5_li: ; @_ZL20rocblas_trmvt_kernelILi512ELb1ELb0ELb0EPKfPfS2_EviT3_lllT4_lllT5_li
; %bb.0:
	s_clause 0x1
	s_load_dwordx16 s[8:23], s[4:5], 0x8
	s_load_dword s3, s[4:5], 0x0
	s_mov_b32 s0, s7
	v_mov_b32_e32 v5, 0
	s_waitcnt lgkmcnt(0)
	s_mul_i32 s1, s15, s7
	s_mul_hi_u32 s2, s14, s7
	s_mul_i32 s14, s14, s7
	s_add_i32 s15, s2, s1
	v_cmp_gt_i32_e64 s1, s3, v0
	s_lshl_b64 s[14:15], s[14:15], 2
	s_mul_i32 s23, s23, s7
	s_mul_hi_u32 s2, s22, s7
	s_add_u32 s7, s8, s14
	v_cndmask_b32_e64 v1, 0, v0, s1
	s_addc_u32 s14, s9, s15
	s_lshl_b64 s[8:9], s[10:11], 2
	s_mul_hi_u32 s10, s12, s6
	s_add_u32 s11, s7, s8
	s_addc_u32 s14, s14, s9
	s_ashr_i32 s7, s6, 31
	v_lshlrev_b32_e32 v1, 2, v1
	s_mul_i32 s8, s12, s7
	s_mul_i32 s9, s13, s6
	s_add_i32 s10, s10, s8
	s_mul_i32 s8, s12, s6
	s_add_i32 s9, s10, s9
	v_add_co_u32 v1, s10, s11, v1
	v_add_co_ci_u32_e64 v2, null, s14, 0, s10
	s_lshl_b64 s[8:9], s[8:9], 2
	v_add_co_u32 v1, vcc_lo, v1, s8
	v_add_co_ci_u32_e64 v2, null, s9, v2, vcc_lo
	v_cmp_eq_u32_e32 vcc_lo, 0, v0
	s_add_i32 s9, s2, s23
	s_mul_i32 s8, s22, s0
	s_and_saveexec_b32 s10, vcc_lo
	s_cbranch_execz .LBB10_2
; %bb.1:
	s_lshl_b64 s[12:13], s[8:9], 2
	s_add_u32 s2, s16, s12
	s_addc_u32 s11, s17, s13
	s_lshl_b64 s[12:13], s[18:19], 2
	s_add_u32 s14, s2, s12
	s_addc_u32 s11, s11, s13
	s_lshl_b64 s[12:13], s[6:7], 2
	v_add_co_u32 v3, s2, v1, s12
	v_add_co_ci_u32_e64 v4, null, s13, v2, s2
	s_mul_i32 s2, s20, s7
	s_mul_hi_u32 s12, s20, s6
	global_load_dword v3, v[3:4], off
	s_add_i32 s2, s12, s2
	s_mul_i32 s12, s21, s6
	s_add_i32 s13, s2, s12
	s_mul_i32 s12, s20, s6
	s_lshl_b64 s[12:13], s[12:13], 2
	s_add_u32 s12, s14, s12
	s_addc_u32 s13, s11, s13
	s_load_dword s2, s[12:13], 0x0
	s_waitcnt vmcnt(0) lgkmcnt(0)
	v_fma_f32 v5, v3, s2, 0
.LBB10_2:
	s_or_b32 exec_lo, exec_lo, s10
	s_and_saveexec_b32 s10, s1
	s_cbranch_execz .LBB10_8
; %bb.3:
	v_mad_u64_u32 v[3:4], null, s20, v0, 0
	s_lshl_b64 s[12:13], s[18:19], 2
	s_lshl_b64 s[8:9], s[8:9], 2
	s_add_u32 s1, s16, s12
	s_addc_u32 s2, s17, s13
	s_add_u32 s1, s1, s8
	s_addc_u32 s2, s2, s9
	v_mad_u64_u32 v[6:7], null, s21, v0, v[4:5]
	s_lshl_b64 s[8:9], s[20:21], 11
	s_mov_b32 s11, 0
	v_mov_b32_e32 v4, v6
	v_mov_b32_e32 v6, v0
	v_lshlrev_b64 v[3:4], 2, v[3:4]
	v_add_co_u32 v3, s1, s1, v3
	v_add_co_ci_u32_e64 v4, null, s2, v4, s1
	s_inst_prefetch 0x1
	s_branch .LBB10_5
	.p2align	6
.LBB10_4:                               ;   in Loop: Header=BB10_5 Depth=1
	s_or_b32 exec_lo, exec_lo, s2
	v_add_nc_u32_e32 v6, 0x200, v6
	v_add_co_u32 v1, s1, 0x800, v1
	v_add_co_ci_u32_e64 v2, null, 0, v2, s1
	v_cmp_le_i32_e64 s1, s3, v6
	v_add_co_u32 v3, s2, v3, s8
	v_add_co_ci_u32_e64 v4, null, s9, v4, s2
	s_or_b32 s11, s1, s11
	s_andn2_b32 exec_lo, exec_lo, s11
	s_cbranch_execz .LBB10_7
.LBB10_5:                               ; =>This Inner Loop Header: Depth=1
	s_mov_b32 s2, exec_lo
	v_cmpx_lt_i32_e64 s6, v6
	s_cbranch_execz .LBB10_4
; %bb.6:                                ;   in Loop: Header=BB10_5 Depth=1
	global_load_dword v7, v[1:2], off
	global_load_dword v8, v[3:4], off
	s_waitcnt vmcnt(0)
	v_fmac_f32_e32 v5, v7, v8
	s_branch .LBB10_4
.LBB10_7:
	s_inst_prefetch 0x2
	s_or_b32 exec_lo, exec_lo, s11
.LBB10_8:
	s_or_b32 exec_lo, exec_lo, s10
	v_and_b32_e32 v6, 31, v0
	v_cmp_gt_u32_e64 s1, 32, v0
	v_lshlrev_b32_e32 v1, 2, v6
	s_and_saveexec_b32 s2, s1
; %bb.9:
	v_mov_b32_e32 v2, 0
	ds_write_b32 v1, v2
; %bb.10:
	s_or_b32 exec_lo, exec_lo, s2
	v_mbcnt_lo_u32_b32 v7, -1, 0
	s_mov_b32 s3, exec_lo
	s_waitcnt lgkmcnt(0)
	s_barrier
	buffer_gl0_inv
	v_lshl_or_b32 v2, v7, 2, 64
	v_cmp_gt_u32_e64 s2, 24, v7
	ds_bpermute_b32 v3, v2, v5
	v_cndmask_b32_e64 v2, 0, 8, s2
	v_cmp_gt_u32_e64 s2, 28, v7
	v_add_lshl_u32 v2, v2, v7, 2
	s_waitcnt lgkmcnt(0)
	v_add_f32_e32 v4, v5, v3
	v_cndmask_b32_e64 v3, 0, 4, s2
	v_cmp_gt_u32_e64 s2, 30, v7
	ds_bpermute_b32 v5, v2, v4
	v_add_lshl_u32 v3, v3, v7, 2
	s_waitcnt lgkmcnt(0)
	v_add_f32_e32 v5, v4, v5
	v_cndmask_b32_e64 v4, 0, 2, s2
	v_cmp_ne_u32_e64 s2, 31, v7
	ds_bpermute_b32 v8, v3, v5
	v_add_lshl_u32 v4, v4, v7, 2
	v_add_co_ci_u32_e64 v9, null, 0, v7, s2
	s_waitcnt lgkmcnt(0)
	v_add_f32_e32 v5, v5, v8
	ds_bpermute_b32 v8, v4, v5
	s_waitcnt lgkmcnt(0)
	v_add_f32_e32 v7, v5, v8
	v_lshlrev_b32_e32 v5, 2, v9
	ds_bpermute_b32 v8, v5, v7
	v_cmpx_eq_u32_e32 0, v6
	s_cbranch_execz .LBB10_12
; %bb.11:
	v_lshrrev_b32_e32 v6, 3, v0
	s_waitcnt lgkmcnt(0)
	v_add_f32_e32 v7, v7, v8
	v_and_b32_e32 v6, 60, v6
	ds_write_b32 v6, v7
.LBB10_12:
	s_or_b32 exec_lo, exec_lo, s3
	v_cmp_gt_u32_e64 s2, 16, v0
	v_mov_b32_e32 v0, 0
	s_waitcnt lgkmcnt(0)
	s_barrier
	buffer_gl0_inv
	s_and_saveexec_b32 s3, s2
	s_cbranch_execnz .LBB10_16
; %bb.13:
	s_or_b32 exec_lo, exec_lo, s3
	s_and_saveexec_b32 s2, s1
	s_cbranch_execnz .LBB10_17
.LBB10_14:
	s_or_b32 exec_lo, exec_lo, s2
	s_and_saveexec_b32 s1, vcc_lo
	s_cbranch_execnz .LBB10_18
.LBB10_15:
	s_endpgm
.LBB10_16:
	ds_read_b32 v0, v1
	s_or_b32 exec_lo, exec_lo, s3
	s_and_saveexec_b32 s2, s1
	s_cbranch_execz .LBB10_14
.LBB10_17:
	s_waitcnt lgkmcnt(0)
	ds_bpermute_b32 v1, v2, v0
	s_waitcnt lgkmcnt(0)
	v_add_f32_e32 v0, v0, v1
	ds_bpermute_b32 v1, v3, v0
	s_waitcnt lgkmcnt(0)
	v_add_f32_e32 v0, v0, v1
	;; [unrolled: 3-line block ×4, first 2 shown]
	s_or_b32 exec_lo, exec_lo, s2
	s_and_saveexec_b32 s1, vcc_lo
	s_cbranch_execz .LBB10_15
.LBB10_18:
	s_load_dwordx4 s[8:11], s[4:5], 0x48
	v_mov_b32_e32 v1, 0
	s_waitcnt lgkmcnt(0)
	s_mul_i32 s1, s11, s0
	s_mul_hi_u32 s2, s10, s0
	s_mul_i32 s0, s10, s0
	s_add_i32 s1, s2, s1
	s_lshl_b64 s[0:1], s[0:1], 2
	s_add_u32 s2, s8, s0
	s_addc_u32 s3, s9, s1
	s_lshl_b64 s[0:1], s[6:7], 2
	s_add_u32 s0, s2, s0
	s_addc_u32 s1, s3, s1
	global_store_dword v1, v0, s[0:1]
	s_endpgm
	.section	.rodata,"a",@progbits
	.p2align	6, 0x0
	.amdhsa_kernel _ZL20rocblas_trmvt_kernelILi512ELb1ELb0ELb0EPKfPfS2_EviT3_lllT4_lllT5_li
		.amdhsa_group_segment_fixed_size 128
		.amdhsa_private_segment_fixed_size 0
		.amdhsa_kernarg_size 92
		.amdhsa_user_sgpr_count 6
		.amdhsa_user_sgpr_private_segment_buffer 1
		.amdhsa_user_sgpr_dispatch_ptr 0
		.amdhsa_user_sgpr_queue_ptr 0
		.amdhsa_user_sgpr_kernarg_segment_ptr 1
		.amdhsa_user_sgpr_dispatch_id 0
		.amdhsa_user_sgpr_flat_scratch_init 0
		.amdhsa_user_sgpr_private_segment_size 0
		.amdhsa_wavefront_size32 1
		.amdhsa_uses_dynamic_stack 0
		.amdhsa_system_sgpr_private_segment_wavefront_offset 0
		.amdhsa_system_sgpr_workgroup_id_x 1
		.amdhsa_system_sgpr_workgroup_id_y 0
		.amdhsa_system_sgpr_workgroup_id_z 1
		.amdhsa_system_sgpr_workgroup_info 0
		.amdhsa_system_vgpr_workitem_id 0
		.amdhsa_next_free_vgpr 10
		.amdhsa_next_free_sgpr 24
		.amdhsa_reserve_vcc 1
		.amdhsa_reserve_flat_scratch 0
		.amdhsa_float_round_mode_32 0
		.amdhsa_float_round_mode_16_64 0
		.amdhsa_float_denorm_mode_32 3
		.amdhsa_float_denorm_mode_16_64 3
		.amdhsa_dx10_clamp 1
		.amdhsa_ieee_mode 1
		.amdhsa_fp16_overflow 0
		.amdhsa_workgroup_processor_mode 1
		.amdhsa_memory_ordered 1
		.amdhsa_forward_progress 1
		.amdhsa_shared_vgpr_count 0
		.amdhsa_exception_fp_ieee_invalid_op 0
		.amdhsa_exception_fp_denorm_src 0
		.amdhsa_exception_fp_ieee_div_zero 0
		.amdhsa_exception_fp_ieee_overflow 0
		.amdhsa_exception_fp_ieee_underflow 0
		.amdhsa_exception_fp_ieee_inexact 0
		.amdhsa_exception_int_div_zero 0
	.end_amdhsa_kernel
	.section	.text._ZL20rocblas_trmvt_kernelILi512ELb1ELb0ELb0EPKfPfS2_EviT3_lllT4_lllT5_li,"axG",@progbits,_ZL20rocblas_trmvt_kernelILi512ELb1ELb0ELb0EPKfPfS2_EviT3_lllT4_lllT5_li,comdat
.Lfunc_end10:
	.size	_ZL20rocblas_trmvt_kernelILi512ELb1ELb0ELb0EPKfPfS2_EviT3_lllT4_lllT5_li, .Lfunc_end10-_ZL20rocblas_trmvt_kernelILi512ELb1ELb0ELb0EPKfPfS2_EviT3_lllT4_lllT5_li
                                        ; -- End function
	.set _ZL20rocblas_trmvt_kernelILi512ELb1ELb0ELb0EPKfPfS2_EviT3_lllT4_lllT5_li.num_vgpr, 10
	.set _ZL20rocblas_trmvt_kernelILi512ELb1ELb0ELb0EPKfPfS2_EviT3_lllT4_lllT5_li.num_agpr, 0
	.set _ZL20rocblas_trmvt_kernelILi512ELb1ELb0ELb0EPKfPfS2_EviT3_lllT4_lllT5_li.numbered_sgpr, 24
	.set _ZL20rocblas_trmvt_kernelILi512ELb1ELb0ELb0EPKfPfS2_EviT3_lllT4_lllT5_li.num_named_barrier, 0
	.set _ZL20rocblas_trmvt_kernelILi512ELb1ELb0ELb0EPKfPfS2_EviT3_lllT4_lllT5_li.private_seg_size, 0
	.set _ZL20rocblas_trmvt_kernelILi512ELb1ELb0ELb0EPKfPfS2_EviT3_lllT4_lllT5_li.uses_vcc, 1
	.set _ZL20rocblas_trmvt_kernelILi512ELb1ELb0ELb0EPKfPfS2_EviT3_lllT4_lllT5_li.uses_flat_scratch, 0
	.set _ZL20rocblas_trmvt_kernelILi512ELb1ELb0ELb0EPKfPfS2_EviT3_lllT4_lllT5_li.has_dyn_sized_stack, 0
	.set _ZL20rocblas_trmvt_kernelILi512ELb1ELb0ELb0EPKfPfS2_EviT3_lllT4_lllT5_li.has_recursion, 0
	.set _ZL20rocblas_trmvt_kernelILi512ELb1ELb0ELb0EPKfPfS2_EviT3_lllT4_lllT5_li.has_indirect_call, 0
	.section	.AMDGPU.csdata,"",@progbits
; Kernel info:
; codeLenInByte = 1076
; TotalNumSgprs: 26
; NumVgprs: 10
; ScratchSize: 0
; MemoryBound: 0
; FloatMode: 240
; IeeeMode: 1
; LDSByteSize: 128 bytes/workgroup (compile time only)
; SGPRBlocks: 0
; VGPRBlocks: 1
; NumSGPRsForWavesPerEU: 26
; NumVGPRsForWavesPerEU: 10
; Occupancy: 16
; WaveLimiterHint : 0
; COMPUTE_PGM_RSRC2:SCRATCH_EN: 0
; COMPUTE_PGM_RSRC2:USER_SGPR: 6
; COMPUTE_PGM_RSRC2:TRAP_HANDLER: 0
; COMPUTE_PGM_RSRC2:TGID_X_EN: 1
; COMPUTE_PGM_RSRC2:TGID_Y_EN: 0
; COMPUTE_PGM_RSRC2:TGID_Z_EN: 1
; COMPUTE_PGM_RSRC2:TIDIG_COMP_CNT: 0
	.section	.text._ZL20rocblas_trmvt_kernelILi512ELb1ELb1ELb0EPKfPfS2_EviT3_lllT4_lllT5_li,"axG",@progbits,_ZL20rocblas_trmvt_kernelILi512ELb1ELb1ELb0EPKfPfS2_EviT3_lllT4_lllT5_li,comdat
	.globl	_ZL20rocblas_trmvt_kernelILi512ELb1ELb1ELb0EPKfPfS2_EviT3_lllT4_lllT5_li ; -- Begin function _ZL20rocblas_trmvt_kernelILi512ELb1ELb1ELb0EPKfPfS2_EviT3_lllT4_lllT5_li
	.p2align	8
	.type	_ZL20rocblas_trmvt_kernelILi512ELb1ELb1ELb0EPKfPfS2_EviT3_lllT4_lllT5_li,@function
_ZL20rocblas_trmvt_kernelILi512ELb1ELb1ELb0EPKfPfS2_EviT3_lllT4_lllT5_li: ; @_ZL20rocblas_trmvt_kernelILi512ELb1ELb1ELb0EPKfPfS2_EviT3_lllT4_lllT5_li
; %bb.0:
	s_clause 0x1
	s_load_dwordx16 s[8:23], s[4:5], 0x8
	s_load_dword s3, s[4:5], 0x0
	s_mov_b32 s0, s7
	v_mov_b32_e32 v5, 0
	s_waitcnt lgkmcnt(0)
	s_mul_i32 s1, s15, s7
	s_mul_hi_u32 s2, s14, s7
	s_mul_i32 s14, s14, s7
	s_add_i32 s15, s2, s1
	v_cmp_gt_i32_e64 s1, s3, v0
	s_lshl_b64 s[14:15], s[14:15], 2
	s_mul_i32 s23, s23, s7
	s_mul_hi_u32 s2, s22, s7
	s_add_u32 s7, s8, s14
	v_cndmask_b32_e64 v1, 0, v0, s1
	s_addc_u32 s14, s9, s15
	s_lshl_b64 s[8:9], s[10:11], 2
	s_mul_hi_u32 s10, s12, s6
	s_add_u32 s11, s7, s8
	s_addc_u32 s14, s14, s9
	s_ashr_i32 s7, s6, 31
	v_lshlrev_b32_e32 v1, 2, v1
	s_mul_i32 s8, s12, s7
	s_mul_i32 s9, s13, s6
	s_add_i32 s10, s10, s8
	s_mul_i32 s8, s12, s6
	s_add_i32 s9, s10, s9
	v_add_co_u32 v1, s10, s11, v1
	v_add_co_ci_u32_e64 v2, null, s14, 0, s10
	s_lshl_b64 s[8:9], s[8:9], 2
	v_add_co_u32 v1, vcc_lo, v1, s8
	v_add_co_ci_u32_e64 v2, null, s9, v2, vcc_lo
	v_cmp_eq_u32_e32 vcc_lo, 0, v0
	s_add_i32 s9, s2, s23
	s_mul_i32 s8, s22, s0
	s_and_saveexec_b32 s10, vcc_lo
	s_cbranch_execz .LBB11_2
; %bb.1:
	s_lshl_b64 s[12:13], s[8:9], 2
	s_add_u32 s2, s16, s12
	s_addc_u32 s11, s17, s13
	s_lshl_b64 s[12:13], s[18:19], 2
	s_add_u32 s14, s2, s12
	s_addc_u32 s11, s11, s13
	s_lshl_b64 s[12:13], s[6:7], 2
	v_add_co_u32 v3, s2, v1, s12
	v_add_co_ci_u32_e64 v4, null, s13, v2, s2
	s_mul_i32 s2, s20, s7
	s_mul_hi_u32 s12, s20, s6
	global_load_dword v3, v[3:4], off
	s_add_i32 s2, s12, s2
	s_mul_i32 s12, s21, s6
	s_add_i32 s13, s2, s12
	s_mul_i32 s12, s20, s6
	s_lshl_b64 s[12:13], s[12:13], 2
	s_add_u32 s12, s14, s12
	s_addc_u32 s13, s11, s13
	s_load_dword s2, s[12:13], 0x0
	s_waitcnt vmcnt(0) lgkmcnt(0)
	v_fma_f32 v5, v3, s2, 0
.LBB11_2:
	s_or_b32 exec_lo, exec_lo, s10
	s_and_saveexec_b32 s10, s1
	s_cbranch_execz .LBB11_8
; %bb.3:
	v_mad_u64_u32 v[3:4], null, s20, v0, 0
	s_lshl_b64 s[12:13], s[18:19], 2
	s_lshl_b64 s[8:9], s[8:9], 2
	s_add_u32 s1, s16, s12
	s_addc_u32 s2, s17, s13
	s_add_u32 s1, s1, s8
	s_addc_u32 s2, s2, s9
	v_mad_u64_u32 v[6:7], null, s21, v0, v[4:5]
	s_lshl_b64 s[8:9], s[20:21], 11
	s_mov_b32 s11, 0
	v_mov_b32_e32 v4, v6
	v_mov_b32_e32 v6, v0
	v_lshlrev_b64 v[3:4], 2, v[3:4]
	v_add_co_u32 v3, s1, s1, v3
	v_add_co_ci_u32_e64 v4, null, s2, v4, s1
	s_inst_prefetch 0x1
	s_branch .LBB11_5
	.p2align	6
.LBB11_4:                               ;   in Loop: Header=BB11_5 Depth=1
	s_or_b32 exec_lo, exec_lo, s2
	v_add_nc_u32_e32 v6, 0x200, v6
	v_add_co_u32 v1, s1, 0x800, v1
	v_add_co_ci_u32_e64 v2, null, 0, v2, s1
	v_cmp_le_i32_e64 s1, s3, v6
	v_add_co_u32 v3, s2, v3, s8
	v_add_co_ci_u32_e64 v4, null, s9, v4, s2
	s_or_b32 s11, s1, s11
	s_andn2_b32 exec_lo, exec_lo, s11
	s_cbranch_execz .LBB11_7
.LBB11_5:                               ; =>This Inner Loop Header: Depth=1
	s_mov_b32 s2, exec_lo
	v_cmpx_lt_i32_e64 s6, v6
	s_cbranch_execz .LBB11_4
; %bb.6:                                ;   in Loop: Header=BB11_5 Depth=1
	global_load_dword v7, v[1:2], off
	global_load_dword v8, v[3:4], off
	s_waitcnt vmcnt(0)
	v_fmac_f32_e32 v5, v7, v8
	s_branch .LBB11_4
.LBB11_7:
	s_inst_prefetch 0x2
	s_or_b32 exec_lo, exec_lo, s11
.LBB11_8:
	s_or_b32 exec_lo, exec_lo, s10
	v_and_b32_e32 v6, 31, v0
	v_cmp_gt_u32_e64 s1, 32, v0
	v_lshlrev_b32_e32 v1, 2, v6
	s_and_saveexec_b32 s2, s1
; %bb.9:
	v_mov_b32_e32 v2, 0
	ds_write_b32 v1, v2
; %bb.10:
	s_or_b32 exec_lo, exec_lo, s2
	v_mbcnt_lo_u32_b32 v7, -1, 0
	s_mov_b32 s3, exec_lo
	s_waitcnt lgkmcnt(0)
	s_barrier
	buffer_gl0_inv
	v_lshl_or_b32 v2, v7, 2, 64
	v_cmp_gt_u32_e64 s2, 24, v7
	ds_bpermute_b32 v3, v2, v5
	v_cndmask_b32_e64 v2, 0, 8, s2
	v_cmp_gt_u32_e64 s2, 28, v7
	v_add_lshl_u32 v2, v2, v7, 2
	s_waitcnt lgkmcnt(0)
	v_add_f32_e32 v4, v5, v3
	v_cndmask_b32_e64 v3, 0, 4, s2
	v_cmp_gt_u32_e64 s2, 30, v7
	ds_bpermute_b32 v5, v2, v4
	v_add_lshl_u32 v3, v3, v7, 2
	s_waitcnt lgkmcnt(0)
	v_add_f32_e32 v5, v4, v5
	v_cndmask_b32_e64 v4, 0, 2, s2
	v_cmp_ne_u32_e64 s2, 31, v7
	ds_bpermute_b32 v8, v3, v5
	v_add_lshl_u32 v4, v4, v7, 2
	v_add_co_ci_u32_e64 v9, null, 0, v7, s2
	s_waitcnt lgkmcnt(0)
	v_add_f32_e32 v5, v5, v8
	ds_bpermute_b32 v8, v4, v5
	s_waitcnt lgkmcnt(0)
	v_add_f32_e32 v7, v5, v8
	v_lshlrev_b32_e32 v5, 2, v9
	ds_bpermute_b32 v8, v5, v7
	v_cmpx_eq_u32_e32 0, v6
	s_cbranch_execz .LBB11_12
; %bb.11:
	v_lshrrev_b32_e32 v6, 3, v0
	s_waitcnt lgkmcnt(0)
	v_add_f32_e32 v7, v7, v8
	v_and_b32_e32 v6, 60, v6
	ds_write_b32 v6, v7
.LBB11_12:
	s_or_b32 exec_lo, exec_lo, s3
	v_cmp_gt_u32_e64 s2, 16, v0
	v_mov_b32_e32 v0, 0
	s_waitcnt lgkmcnt(0)
	s_barrier
	buffer_gl0_inv
	s_and_saveexec_b32 s3, s2
	s_cbranch_execnz .LBB11_16
; %bb.13:
	s_or_b32 exec_lo, exec_lo, s3
	s_and_saveexec_b32 s2, s1
	s_cbranch_execnz .LBB11_17
.LBB11_14:
	s_or_b32 exec_lo, exec_lo, s2
	s_and_saveexec_b32 s1, vcc_lo
	s_cbranch_execnz .LBB11_18
.LBB11_15:
	s_endpgm
.LBB11_16:
	ds_read_b32 v0, v1
	s_or_b32 exec_lo, exec_lo, s3
	s_and_saveexec_b32 s2, s1
	s_cbranch_execz .LBB11_14
.LBB11_17:
	s_waitcnt lgkmcnt(0)
	ds_bpermute_b32 v1, v2, v0
	s_waitcnt lgkmcnt(0)
	v_add_f32_e32 v0, v0, v1
	ds_bpermute_b32 v1, v3, v0
	s_waitcnt lgkmcnt(0)
	v_add_f32_e32 v0, v0, v1
	;; [unrolled: 3-line block ×4, first 2 shown]
	s_or_b32 exec_lo, exec_lo, s2
	s_and_saveexec_b32 s1, vcc_lo
	s_cbranch_execz .LBB11_15
.LBB11_18:
	s_load_dwordx4 s[8:11], s[4:5], 0x48
	v_mov_b32_e32 v1, 0
	s_waitcnt lgkmcnt(0)
	s_mul_i32 s1, s11, s0
	s_mul_hi_u32 s2, s10, s0
	s_mul_i32 s0, s10, s0
	s_add_i32 s1, s2, s1
	s_lshl_b64 s[0:1], s[0:1], 2
	s_add_u32 s2, s8, s0
	s_addc_u32 s3, s9, s1
	s_lshl_b64 s[0:1], s[6:7], 2
	s_add_u32 s0, s2, s0
	s_addc_u32 s1, s3, s1
	global_store_dword v1, v0, s[0:1]
	s_endpgm
	.section	.rodata,"a",@progbits
	.p2align	6, 0x0
	.amdhsa_kernel _ZL20rocblas_trmvt_kernelILi512ELb1ELb1ELb0EPKfPfS2_EviT3_lllT4_lllT5_li
		.amdhsa_group_segment_fixed_size 128
		.amdhsa_private_segment_fixed_size 0
		.amdhsa_kernarg_size 92
		.amdhsa_user_sgpr_count 6
		.amdhsa_user_sgpr_private_segment_buffer 1
		.amdhsa_user_sgpr_dispatch_ptr 0
		.amdhsa_user_sgpr_queue_ptr 0
		.amdhsa_user_sgpr_kernarg_segment_ptr 1
		.amdhsa_user_sgpr_dispatch_id 0
		.amdhsa_user_sgpr_flat_scratch_init 0
		.amdhsa_user_sgpr_private_segment_size 0
		.amdhsa_wavefront_size32 1
		.amdhsa_uses_dynamic_stack 0
		.amdhsa_system_sgpr_private_segment_wavefront_offset 0
		.amdhsa_system_sgpr_workgroup_id_x 1
		.amdhsa_system_sgpr_workgroup_id_y 0
		.amdhsa_system_sgpr_workgroup_id_z 1
		.amdhsa_system_sgpr_workgroup_info 0
		.amdhsa_system_vgpr_workitem_id 0
		.amdhsa_next_free_vgpr 10
		.amdhsa_next_free_sgpr 24
		.amdhsa_reserve_vcc 1
		.amdhsa_reserve_flat_scratch 0
		.amdhsa_float_round_mode_32 0
		.amdhsa_float_round_mode_16_64 0
		.amdhsa_float_denorm_mode_32 3
		.amdhsa_float_denorm_mode_16_64 3
		.amdhsa_dx10_clamp 1
		.amdhsa_ieee_mode 1
		.amdhsa_fp16_overflow 0
		.amdhsa_workgroup_processor_mode 1
		.amdhsa_memory_ordered 1
		.amdhsa_forward_progress 1
		.amdhsa_shared_vgpr_count 0
		.amdhsa_exception_fp_ieee_invalid_op 0
		.amdhsa_exception_fp_denorm_src 0
		.amdhsa_exception_fp_ieee_div_zero 0
		.amdhsa_exception_fp_ieee_overflow 0
		.amdhsa_exception_fp_ieee_underflow 0
		.amdhsa_exception_fp_ieee_inexact 0
		.amdhsa_exception_int_div_zero 0
	.end_amdhsa_kernel
	.section	.text._ZL20rocblas_trmvt_kernelILi512ELb1ELb1ELb0EPKfPfS2_EviT3_lllT4_lllT5_li,"axG",@progbits,_ZL20rocblas_trmvt_kernelILi512ELb1ELb1ELb0EPKfPfS2_EviT3_lllT4_lllT5_li,comdat
.Lfunc_end11:
	.size	_ZL20rocblas_trmvt_kernelILi512ELb1ELb1ELb0EPKfPfS2_EviT3_lllT4_lllT5_li, .Lfunc_end11-_ZL20rocblas_trmvt_kernelILi512ELb1ELb1ELb0EPKfPfS2_EviT3_lllT4_lllT5_li
                                        ; -- End function
	.set _ZL20rocblas_trmvt_kernelILi512ELb1ELb1ELb0EPKfPfS2_EviT3_lllT4_lllT5_li.num_vgpr, 10
	.set _ZL20rocblas_trmvt_kernelILi512ELb1ELb1ELb0EPKfPfS2_EviT3_lllT4_lllT5_li.num_agpr, 0
	.set _ZL20rocblas_trmvt_kernelILi512ELb1ELb1ELb0EPKfPfS2_EviT3_lllT4_lllT5_li.numbered_sgpr, 24
	.set _ZL20rocblas_trmvt_kernelILi512ELb1ELb1ELb0EPKfPfS2_EviT3_lllT4_lllT5_li.num_named_barrier, 0
	.set _ZL20rocblas_trmvt_kernelILi512ELb1ELb1ELb0EPKfPfS2_EviT3_lllT4_lllT5_li.private_seg_size, 0
	.set _ZL20rocblas_trmvt_kernelILi512ELb1ELb1ELb0EPKfPfS2_EviT3_lllT4_lllT5_li.uses_vcc, 1
	.set _ZL20rocblas_trmvt_kernelILi512ELb1ELb1ELb0EPKfPfS2_EviT3_lllT4_lllT5_li.uses_flat_scratch, 0
	.set _ZL20rocblas_trmvt_kernelILi512ELb1ELb1ELb0EPKfPfS2_EviT3_lllT4_lllT5_li.has_dyn_sized_stack, 0
	.set _ZL20rocblas_trmvt_kernelILi512ELb1ELb1ELb0EPKfPfS2_EviT3_lllT4_lllT5_li.has_recursion, 0
	.set _ZL20rocblas_trmvt_kernelILi512ELb1ELb1ELb0EPKfPfS2_EviT3_lllT4_lllT5_li.has_indirect_call, 0
	.section	.AMDGPU.csdata,"",@progbits
; Kernel info:
; codeLenInByte = 1076
; TotalNumSgprs: 26
; NumVgprs: 10
; ScratchSize: 0
; MemoryBound: 0
; FloatMode: 240
; IeeeMode: 1
; LDSByteSize: 128 bytes/workgroup (compile time only)
; SGPRBlocks: 0
; VGPRBlocks: 1
; NumSGPRsForWavesPerEU: 26
; NumVGPRsForWavesPerEU: 10
; Occupancy: 16
; WaveLimiterHint : 0
; COMPUTE_PGM_RSRC2:SCRATCH_EN: 0
; COMPUTE_PGM_RSRC2:USER_SGPR: 6
; COMPUTE_PGM_RSRC2:TRAP_HANDLER: 0
; COMPUTE_PGM_RSRC2:TGID_X_EN: 1
; COMPUTE_PGM_RSRC2:TGID_Y_EN: 0
; COMPUTE_PGM_RSRC2:TGID_Z_EN: 1
; COMPUTE_PGM_RSRC2:TIDIG_COMP_CNT: 0
	.section	.text._ZL20rocblas_trmvn_kernelILi64ELi16ELb0ELb1EPKdPdS2_EviT3_lllT4_lllT5_li,"axG",@progbits,_ZL20rocblas_trmvn_kernelILi64ELi16ELb0ELb1EPKdPdS2_EviT3_lllT4_lllT5_li,comdat
	.globl	_ZL20rocblas_trmvn_kernelILi64ELi16ELb0ELb1EPKdPdS2_EviT3_lllT4_lllT5_li ; -- Begin function _ZL20rocblas_trmvn_kernelILi64ELi16ELb0ELb1EPKdPdS2_EviT3_lllT4_lllT5_li
	.p2align	8
	.type	_ZL20rocblas_trmvn_kernelILi64ELi16ELb0ELb1EPKdPdS2_EviT3_lllT4_lllT5_li,@function
_ZL20rocblas_trmvn_kernelILi64ELi16ELb0ELb1EPKdPdS2_EviT3_lllT4_lllT5_li: ; @_ZL20rocblas_trmvn_kernelILi64ELi16ELb0ELb1EPKdPdS2_EviT3_lllT4_lllT5_li
; %bb.0:
	s_clause 0x1
	s_load_dwordx16 s[8:23], s[4:5], 0x8
	s_load_dword s24, s[4:5], 0x0
	v_lshl_add_u32 v2, s6, 6, v0
	v_cmp_eq_u32_e64 s0, 0, v1
	v_mov_b32_e32 v4, 0
	v_mov_b32_e32 v5, 0
	s_waitcnt lgkmcnt(0)
	s_mul_i32 s1, s23, s7
	v_cmp_gt_i32_e32 vcc_lo, s24, v2
	s_mul_hi_u32 s2, s22, s7
	s_add_i32 s3, s2, s1
	s_mul_i32 s2, s22, s7
	s_and_b32 s0, s0, vcc_lo
	s_and_saveexec_b32 s1, s0
	s_cbranch_execz .LBB12_2
; %bb.1:
	v_ashrrev_i32_e32 v5, 31, v2
	v_mul_lo_u32 v6, s21, v2
	v_mad_u64_u32 v[3:4], null, s20, v2, 0
	s_lshl_b64 s[22:23], s[2:3], 3
	v_mul_lo_u32 v5, s20, v5
	s_add_u32 s0, s16, s22
	s_addc_u32 s6, s17, s23
	s_lshl_b64 s[22:23], s[18:19], 3
	s_add_u32 s0, s0, s22
	s_addc_u32 s6, s6, s23
	v_add3_u32 v4, v4, v5, v6
	v_lshlrev_b64 v[3:4], 3, v[3:4]
	v_add_co_u32 v3, s0, s0, v3
	v_add_co_ci_u32_e64 v4, null, s6, v4, s0
	global_load_dwordx2 v[4:5], v[3:4], off
.LBB12_2:
	s_or_b32 exec_lo, exec_lo, s1
	s_load_dword s6, s[4:5], 0x6c
	s_mov_b32 s22, exec_lo
	v_cmpx_gt_i32_e64 s24, v1
	s_cbranch_execz .LBB12_8
; %bb.3:
	v_mad_u64_u32 v[6:7], null, s12, v1, 0
	v_mad_u64_u32 v[8:9], null, s20, v1, 0
	s_lshl_b64 s[0:1], s[2:3], 3
	s_lshl_b64 s[2:3], s[18:19], 3
	s_mul_i32 s15, s15, s7
	s_add_u32 s2, s16, s2
	s_mul_hi_u32 s18, s14, s7
	s_addc_u32 s3, s17, s3
	v_mad_u64_u32 v[10:11], null, s13, v1, v[7:8]
	s_add_u32 s16, s2, s0
	v_ashrrev_i32_e32 v3, 31, v2
	s_mul_i32 s14, s14, s7
	s_addc_u32 s17, s3, s1
	s_add_i32 s15, s18, s15
	s_lshl_b64 s[0:1], s[10:11], 3
	v_mov_b32_e32 v7, v10
	v_mad_u64_u32 v[9:10], null, s21, v1, v[9:10]
	s_lshl_b64 s[10:11], s[14:15], 3
	s_lshl_b64 s[2:3], s[20:21], 7
	v_lshlrev_b64 v[6:7], 3, v[6:7]
	s_add_u32 s0, s0, s10
	v_lshlrev_b64 v[10:11], 3, v[2:3]
	s_addc_u32 s1, s1, s11
	s_mov_b32 s10, 0
	v_add_co_u32 v3, s0, s0, v6
	v_add_co_ci_u32_e64 v12, null, s1, v7, s0
	v_lshlrev_b64 v[6:7], 3, v[8:9]
	v_add_co_u32 v3, s0, v3, v10
	v_add_co_ci_u32_e64 v9, null, v12, v11, s0
	v_add_co_u32 v6, s0, s16, v6
	v_add_co_ci_u32_e64 v7, null, s17, v7, s0
	;; [unrolled: 2-line block ×3, first 2 shown]
	v_mov_b32_e32 v3, v1
	s_lshl_b64 s[8:9], s[12:13], 7
	s_inst_prefetch 0x1
	s_branch .LBB12_5
	.p2align	6
.LBB12_4:                               ;   in Loop: Header=BB12_5 Depth=1
	s_or_b32 exec_lo, exec_lo, s1
	v_add_nc_u32_e32 v3, 16, v3
	v_add_co_u32 v6, s0, v6, s2
	v_add_co_ci_u32_e64 v7, null, s3, v7, s0
	v_cmp_le_i32_e64 s0, s24, v3
	v_add_co_u32 v8, s1, v8, s8
	v_add_co_ci_u32_e64 v9, null, s9, v9, s1
	s_or_b32 s10, s0, s10
	s_andn2_b32 exec_lo, exec_lo, s10
	s_cbranch_execz .LBB12_7
.LBB12_5:                               ; =>This Inner Loop Header: Depth=1
	s_mov_b32 s1, exec_lo
	v_cmpx_gt_i32_e64 v3, v2
	s_cbranch_execz .LBB12_4
; %bb.6:                                ;   in Loop: Header=BB12_5 Depth=1
	global_load_dwordx2 v[10:11], v[8:9], off
	global_load_dwordx2 v[12:13], v[6:7], off
	s_waitcnt vmcnt(0)
	v_fma_f64 v[4:5], v[10:11], v[12:13], v[4:5]
	s_branch .LBB12_4
.LBB12_7:
	s_inst_prefetch 0x2
	s_or_b32 exec_lo, exec_lo, s10
.LBB12_8:
	s_or_b32 exec_lo, exec_lo, s22
	v_lshlrev_b32_e32 v3, 3, v0
	s_waitcnt lgkmcnt(0)
	s_and_b32 s1, 0xffff, s6
	s_mov_b32 s2, exec_lo
	v_mad_u32_u24 v0, v1, s1, v0
	v_lshl_add_u32 v6, v1, 9, v3
	s_waitcnt vmcnt(0)
	ds_write_b64 v6, v[4:5]
	s_waitcnt lgkmcnt(0)
	s_barrier
	buffer_gl0_inv
	v_cmpx_gt_u32_e32 64, v0
	s_cbranch_execz .LBB12_11
; %bb.9:
	v_mul_u32_u24_e32 v0, s1, v1
	v_lshl_add_u32 v11, v0, 3, v3
	ds_read2st64_b64 v[3:6], v11 offset1:1
	ds_read2st64_b64 v[7:10], v11 offset0:2 offset1:3
	s_waitcnt lgkmcnt(1)
	v_add_f64 v[0:1], v[3:4], v[5:6]
	s_waitcnt lgkmcnt(0)
	v_add_f64 v[0:1], v[7:8], v[0:1]
	v_add_f64 v[0:1], v[9:10], v[0:1]
	ds_read2st64_b64 v[3:6], v11 offset0:4 offset1:5
	ds_read2st64_b64 v[7:10], v11 offset0:6 offset1:7
	s_waitcnt lgkmcnt(1)
	v_add_f64 v[0:1], v[3:4], v[0:1]
	v_add_f64 v[0:1], v[5:6], v[0:1]
	s_waitcnt lgkmcnt(0)
	v_add_f64 v[0:1], v[7:8], v[0:1]
	v_add_f64 v[0:1], v[9:10], v[0:1]
	ds_read2st64_b64 v[3:6], v11 offset0:8 offset1:9
	ds_read2st64_b64 v[7:10], v11 offset0:10 offset1:11
	s_waitcnt lgkmcnt(1)
	v_add_f64 v[0:1], v[3:4], v[0:1]
	;; [unrolled: 8-line block ×3, first 2 shown]
	v_add_f64 v[0:1], v[5:6], v[0:1]
	s_waitcnt lgkmcnt(0)
	v_add_f64 v[0:1], v[7:8], v[0:1]
	v_add_f64 v[0:1], v[9:10], v[0:1]
	ds_write_b64 v11, v[0:1]
	s_and_b32 exec_lo, exec_lo, vcc_lo
	s_cbranch_execz .LBB12_11
; %bb.10:
	s_load_dwordx4 s[0:3], s[4:5], 0x48
	v_ashrrev_i32_e32 v3, 31, v2
	v_lshlrev_b64 v[2:3], 3, v[2:3]
	s_waitcnt lgkmcnt(0)
	s_mul_i32 s3, s3, s7
	s_mul_hi_u32 s4, s2, s7
	s_mul_i32 s2, s2, s7
	s_add_i32 s3, s4, s3
	s_lshl_b64 s[2:3], s[2:3], 3
	s_add_u32 s0, s0, s2
	s_addc_u32 s1, s1, s3
	v_add_co_u32 v2, vcc_lo, s0, v2
	v_add_co_ci_u32_e64 v3, null, s1, v3, vcc_lo
	global_store_dwordx2 v[2:3], v[0:1], off
.LBB12_11:
	s_endpgm
	.section	.rodata,"a",@progbits
	.p2align	6, 0x0
	.amdhsa_kernel _ZL20rocblas_trmvn_kernelILi64ELi16ELb0ELb1EPKdPdS2_EviT3_lllT4_lllT5_li
		.amdhsa_group_segment_fixed_size 8192
		.amdhsa_private_segment_fixed_size 0
		.amdhsa_kernarg_size 352
		.amdhsa_user_sgpr_count 6
		.amdhsa_user_sgpr_private_segment_buffer 1
		.amdhsa_user_sgpr_dispatch_ptr 0
		.amdhsa_user_sgpr_queue_ptr 0
		.amdhsa_user_sgpr_kernarg_segment_ptr 1
		.amdhsa_user_sgpr_dispatch_id 0
		.amdhsa_user_sgpr_flat_scratch_init 0
		.amdhsa_user_sgpr_private_segment_size 0
		.amdhsa_wavefront_size32 1
		.amdhsa_uses_dynamic_stack 0
		.amdhsa_system_sgpr_private_segment_wavefront_offset 0
		.amdhsa_system_sgpr_workgroup_id_x 1
		.amdhsa_system_sgpr_workgroup_id_y 0
		.amdhsa_system_sgpr_workgroup_id_z 1
		.amdhsa_system_sgpr_workgroup_info 0
		.amdhsa_system_vgpr_workitem_id 1
		.amdhsa_next_free_vgpr 14
		.amdhsa_next_free_sgpr 25
		.amdhsa_reserve_vcc 1
		.amdhsa_reserve_flat_scratch 0
		.amdhsa_float_round_mode_32 0
		.amdhsa_float_round_mode_16_64 0
		.amdhsa_float_denorm_mode_32 3
		.amdhsa_float_denorm_mode_16_64 3
		.amdhsa_dx10_clamp 1
		.amdhsa_ieee_mode 1
		.amdhsa_fp16_overflow 0
		.amdhsa_workgroup_processor_mode 1
		.amdhsa_memory_ordered 1
		.amdhsa_forward_progress 1
		.amdhsa_shared_vgpr_count 0
		.amdhsa_exception_fp_ieee_invalid_op 0
		.amdhsa_exception_fp_denorm_src 0
		.amdhsa_exception_fp_ieee_div_zero 0
		.amdhsa_exception_fp_ieee_overflow 0
		.amdhsa_exception_fp_ieee_underflow 0
		.amdhsa_exception_fp_ieee_inexact 0
		.amdhsa_exception_int_div_zero 0
	.end_amdhsa_kernel
	.section	.text._ZL20rocblas_trmvn_kernelILi64ELi16ELb0ELb1EPKdPdS2_EviT3_lllT4_lllT5_li,"axG",@progbits,_ZL20rocblas_trmvn_kernelILi64ELi16ELb0ELb1EPKdPdS2_EviT3_lllT4_lllT5_li,comdat
.Lfunc_end12:
	.size	_ZL20rocblas_trmvn_kernelILi64ELi16ELb0ELb1EPKdPdS2_EviT3_lllT4_lllT5_li, .Lfunc_end12-_ZL20rocblas_trmvn_kernelILi64ELi16ELb0ELb1EPKdPdS2_EviT3_lllT4_lllT5_li
                                        ; -- End function
	.set _ZL20rocblas_trmvn_kernelILi64ELi16ELb0ELb1EPKdPdS2_EviT3_lllT4_lllT5_li.num_vgpr, 14
	.set _ZL20rocblas_trmvn_kernelILi64ELi16ELb0ELb1EPKdPdS2_EviT3_lllT4_lllT5_li.num_agpr, 0
	.set _ZL20rocblas_trmvn_kernelILi64ELi16ELb0ELb1EPKdPdS2_EviT3_lllT4_lllT5_li.numbered_sgpr, 25
	.set _ZL20rocblas_trmvn_kernelILi64ELi16ELb0ELb1EPKdPdS2_EviT3_lllT4_lllT5_li.num_named_barrier, 0
	.set _ZL20rocblas_trmvn_kernelILi64ELi16ELb0ELb1EPKdPdS2_EviT3_lllT4_lllT5_li.private_seg_size, 0
	.set _ZL20rocblas_trmvn_kernelILi64ELi16ELb0ELb1EPKdPdS2_EviT3_lllT4_lllT5_li.uses_vcc, 1
	.set _ZL20rocblas_trmvn_kernelILi64ELi16ELb0ELb1EPKdPdS2_EviT3_lllT4_lllT5_li.uses_flat_scratch, 0
	.set _ZL20rocblas_trmvn_kernelILi64ELi16ELb0ELb1EPKdPdS2_EviT3_lllT4_lllT5_li.has_dyn_sized_stack, 0
	.set _ZL20rocblas_trmvn_kernelILi64ELi16ELb0ELb1EPKdPdS2_EviT3_lllT4_lllT5_li.has_recursion, 0
	.set _ZL20rocblas_trmvn_kernelILi64ELi16ELb0ELb1EPKdPdS2_EviT3_lllT4_lllT5_li.has_indirect_call, 0
	.section	.AMDGPU.csdata,"",@progbits
; Kernel info:
; codeLenInByte = 964
; TotalNumSgprs: 27
; NumVgprs: 14
; ScratchSize: 0
; MemoryBound: 1
; FloatMode: 240
; IeeeMode: 1
; LDSByteSize: 8192 bytes/workgroup (compile time only)
; SGPRBlocks: 0
; VGPRBlocks: 1
; NumSGPRsForWavesPerEU: 27
; NumVGPRsForWavesPerEU: 14
; Occupancy: 16
; WaveLimiterHint : 0
; COMPUTE_PGM_RSRC2:SCRATCH_EN: 0
; COMPUTE_PGM_RSRC2:USER_SGPR: 6
; COMPUTE_PGM_RSRC2:TRAP_HANDLER: 0
; COMPUTE_PGM_RSRC2:TGID_X_EN: 1
; COMPUTE_PGM_RSRC2:TGID_Y_EN: 0
; COMPUTE_PGM_RSRC2:TGID_Z_EN: 1
; COMPUTE_PGM_RSRC2:TIDIG_COMP_CNT: 1
	.section	.text._ZL20rocblas_trmvt_kernelILi512ELb0ELb0ELb1EPKdPdS2_EviT3_lllT4_lllT5_li,"axG",@progbits,_ZL20rocblas_trmvt_kernelILi512ELb0ELb0ELb1EPKdPdS2_EviT3_lllT4_lllT5_li,comdat
	.globl	_ZL20rocblas_trmvt_kernelILi512ELb0ELb0ELb1EPKdPdS2_EviT3_lllT4_lllT5_li ; -- Begin function _ZL20rocblas_trmvt_kernelILi512ELb0ELb0ELb1EPKdPdS2_EviT3_lllT4_lllT5_li
	.p2align	8
	.type	_ZL20rocblas_trmvt_kernelILi512ELb0ELb0ELb1EPKdPdS2_EviT3_lllT4_lllT5_li,@function
_ZL20rocblas_trmvt_kernelILi512ELb0ELb0ELb1EPKdPdS2_EviT3_lllT4_lllT5_li: ; @_ZL20rocblas_trmvt_kernelILi512ELb0ELb0ELb1EPKdPdS2_EviT3_lllT4_lllT5_li
; %bb.0:
	s_load_dwordx16 s[8:23], s[4:5], 0x8
	v_mov_b32_e32 v1, 0
	v_mov_b32_e32 v2, 0
	v_cmp_eq_u32_e32 vcc_lo, 0, v0
	s_mov_b32 s0, s7
	s_waitcnt lgkmcnt(0)
	s_mul_i32 s1, s23, s7
	s_mul_hi_u32 s3, s22, s7
	s_mul_i32 s2, s22, s7
	s_add_i32 s3, s3, s1
	s_ashr_i32 s7, s6, 31
	s_and_saveexec_b32 s1, vcc_lo
	s_cbranch_execz .LBB13_2
; %bb.1:
	s_lshl_b64 s[22:23], s[2:3], 3
	s_mul_i32 s26, s20, s7
	s_add_u32 s24, s16, s22
	s_addc_u32 s25, s17, s23
	s_lshl_b64 s[22:23], s[18:19], 3
	s_add_u32 s24, s24, s22
	s_mul_hi_u32 s22, s20, s6
	s_addc_u32 s25, s25, s23
	s_add_i32 s22, s22, s26
	s_mul_i32 s23, s21, s6
	s_add_i32 s23, s22, s23
	s_mul_i32 s22, s20, s6
	s_lshl_b64 s[22:23], s[22:23], 3
	s_add_u32 s22, s24, s22
	s_addc_u32 s23, s25, s23
	s_load_dwordx2 s[22:23], s[22:23], 0x0
	s_waitcnt lgkmcnt(0)
	v_add_f64 v[1:2], s[22:23], 0
.LBB13_2:
	s_or_b32 exec_lo, exec_lo, s1
	s_load_dword s23, s[4:5], 0x0
	s_waitcnt lgkmcnt(0)
	v_cmp_gt_i32_e64 s1, s23, v0
	s_and_saveexec_b32 s22, s1
	s_cbranch_execz .LBB13_8
; %bb.3:
	v_mad_u64_u32 v[5:6], null, s20, v0, 0
	s_mul_i32 s15, s15, s0
	s_mul_hi_u32 s24, s14, s0
	s_mul_i32 s14, s14, s0
	s_add_i32 s15, s24, s15
	v_cndmask_b32_e64 v4, 0, v0, s1
	s_lshl_b64 s[14:15], s[14:15], 3
	v_mov_b32_e32 v3, v6
	s_add_u32 s14, s8, s14
	s_addc_u32 s15, s9, s15
	s_lshl_b64 s[8:9], s[10:11], 3
	v_lshlrev_b32_e32 v6, 3, v4
	v_mad_u64_u32 v[3:4], null, s21, v0, v[3:4]
	s_add_u32 s10, s14, s8
	s_addc_u32 s1, s15, s9
	s_mul_i32 s8, s12, s7
	s_mul_hi_u32 s9, s12, s6
	v_add_co_u32 v4, s10, s10, v6
	s_add_i32 s8, s9, s8
	s_mul_i32 s9, s13, s6
	v_add_co_ci_u32_e64 v7, null, s1, 0, s10
	s_add_i32 s9, s8, s9
	s_mul_i32 s8, s12, s6
	v_mov_b32_e32 v6, v3
	s_lshl_b64 s[8:9], s[8:9], 3
	s_lshl_b64 s[2:3], s[2:3], 3
	v_add_co_u32 v3, s1, v4, s8
	v_add_co_ci_u32_e64 v4, null, s9, v7, s1
	s_lshl_b64 s[8:9], s[18:19], 3
	v_lshlrev_b64 v[5:6], 3, v[5:6]
	s_add_u32 s1, s16, s8
	s_addc_u32 s8, s17, s9
	s_add_u32 s1, s1, s2
	s_addc_u32 s2, s8, s3
	v_mov_b32_e32 v7, v0
	v_add_co_u32 v5, s1, s1, v5
	v_add_co_ci_u32_e64 v6, null, s2, v6, s1
	s_mov_b32 s3, 0
	s_lshl_b64 s[8:9], s[20:21], 12
	s_inst_prefetch 0x1
	s_branch .LBB13_5
	.p2align	6
.LBB13_4:                               ;   in Loop: Header=BB13_5 Depth=1
	s_or_b32 exec_lo, exec_lo, s2
	v_add_nc_u32_e32 v7, 0x200, v7
	v_add_co_u32 v3, s1, 0x1000, v3
	v_add_co_ci_u32_e64 v4, null, 0, v4, s1
	v_cmp_le_i32_e64 s1, s23, v7
	v_add_co_u32 v5, s2, v5, s8
	v_add_co_ci_u32_e64 v6, null, s9, v6, s2
	s_or_b32 s3, s1, s3
	s_andn2_b32 exec_lo, exec_lo, s3
	s_cbranch_execz .LBB13_7
.LBB13_5:                               ; =>This Inner Loop Header: Depth=1
	s_mov_b32 s2, exec_lo
	v_cmpx_gt_i32_e64 s6, v7
	s_cbranch_execz .LBB13_4
; %bb.6:                                ;   in Loop: Header=BB13_5 Depth=1
	global_load_dwordx2 v[8:9], v[3:4], off
	global_load_dwordx2 v[10:11], v[5:6], off
	s_waitcnt vmcnt(0)
	v_fma_f64 v[1:2], v[8:9], v[10:11], v[1:2]
	s_branch .LBB13_4
.LBB13_7:
	s_inst_prefetch 0x2
	s_or_b32 exec_lo, exec_lo, s3
.LBB13_8:
	s_or_b32 exec_lo, exec_lo, s22
	v_and_b32_e32 v10, 31, v0
	v_cmp_gt_u32_e64 s1, 32, v0
	v_lshlrev_b32_e32 v5, 3, v10
	s_and_saveexec_b32 s2, s1
; %bb.9:
	v_mov_b32_e32 v3, 0
	v_mov_b32_e32 v4, v3
	ds_write_b64 v5, v[3:4]
; %bb.10:
	s_or_b32 exec_lo, exec_lo, s2
	v_mbcnt_lo_u32_b32 v9, -1, 0
	s_mov_b32 s3, exec_lo
	s_waitcnt lgkmcnt(0)
	s_barrier
	buffer_gl0_inv
	v_lshl_or_b32 v4, v9, 2, 64
	v_cmp_gt_u32_e64 s2, 24, v9
	ds_bpermute_b32 v3, v4, v1
	ds_bpermute_b32 v4, v4, v2
	s_waitcnt lgkmcnt(0)
	v_add_f64 v[1:2], v[1:2], v[3:4]
	v_cndmask_b32_e64 v3, 0, 8, s2
	v_cmp_gt_u32_e64 s2, 28, v9
	v_add_lshl_u32 v6, v3, v9, 2
	ds_bpermute_b32 v3, v6, v1
	ds_bpermute_b32 v4, v6, v2
	s_waitcnt lgkmcnt(0)
	v_add_f64 v[1:2], v[1:2], v[3:4]
	v_cndmask_b32_e64 v3, 0, 4, s2
	v_cmp_gt_u32_e64 s2, 30, v9
	v_add_lshl_u32 v7, v3, v9, 2
	ds_bpermute_b32 v3, v7, v1
	ds_bpermute_b32 v4, v7, v2
	s_waitcnt lgkmcnt(0)
	v_add_f64 v[1:2], v[1:2], v[3:4]
	v_cndmask_b32_e64 v3, 0, 2, s2
	v_cmp_ne_u32_e64 s2, 31, v9
	v_add_lshl_u32 v8, v3, v9, 2
	ds_bpermute_b32 v3, v8, v1
	ds_bpermute_b32 v4, v8, v2
	s_waitcnt lgkmcnt(0)
	v_add_f64 v[1:2], v[1:2], v[3:4]
	v_add_co_ci_u32_e64 v3, null, 0, v9, s2
	v_lshlrev_b32_e32 v9, 2, v3
	ds_bpermute_b32 v3, v9, v1
	ds_bpermute_b32 v4, v9, v2
	v_cmpx_eq_u32_e32 0, v10
	s_cbranch_execz .LBB13_12
; %bb.11:
	s_waitcnt lgkmcnt(0)
	v_add_f64 v[1:2], v[1:2], v[3:4]
	v_lshrrev_b32_e32 v3, 2, v0
	v_and_b32_e32 v3, 0x78, v3
	ds_write_b64 v3, v[1:2]
.LBB13_12:
	s_or_b32 exec_lo, exec_lo, s3
	v_mov_b32_e32 v1, 0
	v_mov_b32_e32 v2, 0
	s_mov_b32 s3, exec_lo
	s_waitcnt lgkmcnt(0)
	s_barrier
	buffer_gl0_inv
	v_cmpx_gt_u32_e32 16, v0
	s_cbranch_execnz .LBB13_16
; %bb.13:
	s_or_b32 exec_lo, exec_lo, s3
	s_and_saveexec_b32 s2, s1
	s_cbranch_execnz .LBB13_17
.LBB13_14:
	s_or_b32 exec_lo, exec_lo, s2
	s_and_saveexec_b32 s1, vcc_lo
	s_cbranch_execnz .LBB13_18
.LBB13_15:
	s_endpgm
.LBB13_16:
	ds_read_b64 v[1:2], v5
	s_or_b32 exec_lo, exec_lo, s3
	s_and_saveexec_b32 s2, s1
	s_cbranch_execz .LBB13_14
.LBB13_17:
	s_waitcnt lgkmcnt(0)
	ds_bpermute_b32 v3, v6, v1
	ds_bpermute_b32 v4, v6, v2
	s_waitcnt lgkmcnt(0)
	v_add_f64 v[0:1], v[1:2], v[3:4]
	ds_bpermute_b32 v2, v7, v0
	ds_bpermute_b32 v3, v7, v1
	s_waitcnt lgkmcnt(0)
	v_add_f64 v[0:1], v[0:1], v[2:3]
	;; [unrolled: 4-line block ×4, first 2 shown]
	s_or_b32 exec_lo, exec_lo, s2
	s_and_saveexec_b32 s1, vcc_lo
	s_cbranch_execz .LBB13_15
.LBB13_18:
	s_load_dwordx4 s[8:11], s[4:5], 0x48
	v_mov_b32_e32 v0, 0
	s_waitcnt lgkmcnt(0)
	s_mul_i32 s1, s11, s0
	s_mul_hi_u32 s2, s10, s0
	s_mul_i32 s0, s10, s0
	s_add_i32 s1, s2, s1
	s_lshl_b64 s[0:1], s[0:1], 3
	s_add_u32 s2, s8, s0
	s_addc_u32 s3, s9, s1
	s_lshl_b64 s[0:1], s[6:7], 3
	s_add_u32 s0, s2, s0
	s_addc_u32 s1, s3, s1
	global_store_dwordx2 v0, v[1:2], s[0:1]
	s_endpgm
	.section	.rodata,"a",@progbits
	.p2align	6, 0x0
	.amdhsa_kernel _ZL20rocblas_trmvt_kernelILi512ELb0ELb0ELb1EPKdPdS2_EviT3_lllT4_lllT5_li
		.amdhsa_group_segment_fixed_size 256
		.amdhsa_private_segment_fixed_size 0
		.amdhsa_kernarg_size 92
		.amdhsa_user_sgpr_count 6
		.amdhsa_user_sgpr_private_segment_buffer 1
		.amdhsa_user_sgpr_dispatch_ptr 0
		.amdhsa_user_sgpr_queue_ptr 0
		.amdhsa_user_sgpr_kernarg_segment_ptr 1
		.amdhsa_user_sgpr_dispatch_id 0
		.amdhsa_user_sgpr_flat_scratch_init 0
		.amdhsa_user_sgpr_private_segment_size 0
		.amdhsa_wavefront_size32 1
		.amdhsa_uses_dynamic_stack 0
		.amdhsa_system_sgpr_private_segment_wavefront_offset 0
		.amdhsa_system_sgpr_workgroup_id_x 1
		.amdhsa_system_sgpr_workgroup_id_y 0
		.amdhsa_system_sgpr_workgroup_id_z 1
		.amdhsa_system_sgpr_workgroup_info 0
		.amdhsa_system_vgpr_workitem_id 0
		.amdhsa_next_free_vgpr 12
		.amdhsa_next_free_sgpr 27
		.amdhsa_reserve_vcc 1
		.amdhsa_reserve_flat_scratch 0
		.amdhsa_float_round_mode_32 0
		.amdhsa_float_round_mode_16_64 0
		.amdhsa_float_denorm_mode_32 3
		.amdhsa_float_denorm_mode_16_64 3
		.amdhsa_dx10_clamp 1
		.amdhsa_ieee_mode 1
		.amdhsa_fp16_overflow 0
		.amdhsa_workgroup_processor_mode 1
		.amdhsa_memory_ordered 1
		.amdhsa_forward_progress 1
		.amdhsa_shared_vgpr_count 0
		.amdhsa_exception_fp_ieee_invalid_op 0
		.amdhsa_exception_fp_denorm_src 0
		.amdhsa_exception_fp_ieee_div_zero 0
		.amdhsa_exception_fp_ieee_overflow 0
		.amdhsa_exception_fp_ieee_underflow 0
		.amdhsa_exception_fp_ieee_inexact 0
		.amdhsa_exception_int_div_zero 0
	.end_amdhsa_kernel
	.section	.text._ZL20rocblas_trmvt_kernelILi512ELb0ELb0ELb1EPKdPdS2_EviT3_lllT4_lllT5_li,"axG",@progbits,_ZL20rocblas_trmvt_kernelILi512ELb0ELb0ELb1EPKdPdS2_EviT3_lllT4_lllT5_li,comdat
.Lfunc_end13:
	.size	_ZL20rocblas_trmvt_kernelILi512ELb0ELb0ELb1EPKdPdS2_EviT3_lllT4_lllT5_li, .Lfunc_end13-_ZL20rocblas_trmvt_kernelILi512ELb0ELb0ELb1EPKdPdS2_EviT3_lllT4_lllT5_li
                                        ; -- End function
	.set _ZL20rocblas_trmvt_kernelILi512ELb0ELb0ELb1EPKdPdS2_EviT3_lllT4_lllT5_li.num_vgpr, 12
	.set _ZL20rocblas_trmvt_kernelILi512ELb0ELb0ELb1EPKdPdS2_EviT3_lllT4_lllT5_li.num_agpr, 0
	.set _ZL20rocblas_trmvt_kernelILi512ELb0ELb0ELb1EPKdPdS2_EviT3_lllT4_lllT5_li.numbered_sgpr, 27
	.set _ZL20rocblas_trmvt_kernelILi512ELb0ELb0ELb1EPKdPdS2_EviT3_lllT4_lllT5_li.num_named_barrier, 0
	.set _ZL20rocblas_trmvt_kernelILi512ELb0ELb0ELb1EPKdPdS2_EviT3_lllT4_lllT5_li.private_seg_size, 0
	.set _ZL20rocblas_trmvt_kernelILi512ELb0ELb0ELb1EPKdPdS2_EviT3_lllT4_lllT5_li.uses_vcc, 1
	.set _ZL20rocblas_trmvt_kernelILi512ELb0ELb0ELb1EPKdPdS2_EviT3_lllT4_lllT5_li.uses_flat_scratch, 0
	.set _ZL20rocblas_trmvt_kernelILi512ELb0ELb0ELb1EPKdPdS2_EviT3_lllT4_lllT5_li.has_dyn_sized_stack, 0
	.set _ZL20rocblas_trmvt_kernelILi512ELb0ELb0ELb1EPKdPdS2_EviT3_lllT4_lllT5_li.has_recursion, 0
	.set _ZL20rocblas_trmvt_kernelILi512ELb0ELb0ELb1EPKdPdS2_EviT3_lllT4_lllT5_li.has_indirect_call, 0
	.section	.AMDGPU.csdata,"",@progbits
; Kernel info:
; codeLenInByte = 1132
; TotalNumSgprs: 29
; NumVgprs: 12
; ScratchSize: 0
; MemoryBound: 1
; FloatMode: 240
; IeeeMode: 1
; LDSByteSize: 256 bytes/workgroup (compile time only)
; SGPRBlocks: 0
; VGPRBlocks: 1
; NumSGPRsForWavesPerEU: 29
; NumVGPRsForWavesPerEU: 12
; Occupancy: 16
; WaveLimiterHint : 0
; COMPUTE_PGM_RSRC2:SCRATCH_EN: 0
; COMPUTE_PGM_RSRC2:USER_SGPR: 6
; COMPUTE_PGM_RSRC2:TRAP_HANDLER: 0
; COMPUTE_PGM_RSRC2:TGID_X_EN: 1
; COMPUTE_PGM_RSRC2:TGID_Y_EN: 0
; COMPUTE_PGM_RSRC2:TGID_Z_EN: 1
; COMPUTE_PGM_RSRC2:TIDIG_COMP_CNT: 0
	.section	.text._ZL20rocblas_trmvt_kernelILi512ELb0ELb1ELb1EPKdPdS2_EviT3_lllT4_lllT5_li,"axG",@progbits,_ZL20rocblas_trmvt_kernelILi512ELb0ELb1ELb1EPKdPdS2_EviT3_lllT4_lllT5_li,comdat
	.globl	_ZL20rocblas_trmvt_kernelILi512ELb0ELb1ELb1EPKdPdS2_EviT3_lllT4_lllT5_li ; -- Begin function _ZL20rocblas_trmvt_kernelILi512ELb0ELb1ELb1EPKdPdS2_EviT3_lllT4_lllT5_li
	.p2align	8
	.type	_ZL20rocblas_trmvt_kernelILi512ELb0ELb1ELb1EPKdPdS2_EviT3_lllT4_lllT5_li,@function
_ZL20rocblas_trmvt_kernelILi512ELb0ELb1ELb1EPKdPdS2_EviT3_lllT4_lllT5_li: ; @_ZL20rocblas_trmvt_kernelILi512ELb0ELb1ELb1EPKdPdS2_EviT3_lllT4_lllT5_li
; %bb.0:
	s_load_dwordx16 s[8:23], s[4:5], 0x8
	v_mov_b32_e32 v1, 0
	v_mov_b32_e32 v2, 0
	v_cmp_eq_u32_e32 vcc_lo, 0, v0
	s_mov_b32 s0, s7
	s_waitcnt lgkmcnt(0)
	s_mul_i32 s1, s23, s7
	s_mul_hi_u32 s3, s22, s7
	s_mul_i32 s2, s22, s7
	s_add_i32 s3, s3, s1
	s_ashr_i32 s7, s6, 31
	s_and_saveexec_b32 s1, vcc_lo
	s_cbranch_execz .LBB14_2
; %bb.1:
	s_lshl_b64 s[22:23], s[2:3], 3
	s_mul_i32 s26, s20, s7
	s_add_u32 s24, s16, s22
	s_addc_u32 s25, s17, s23
	s_lshl_b64 s[22:23], s[18:19], 3
	s_add_u32 s24, s24, s22
	s_mul_hi_u32 s22, s20, s6
	s_addc_u32 s25, s25, s23
	s_add_i32 s22, s22, s26
	s_mul_i32 s23, s21, s6
	s_add_i32 s23, s22, s23
	s_mul_i32 s22, s20, s6
	s_lshl_b64 s[22:23], s[22:23], 3
	s_add_u32 s22, s24, s22
	s_addc_u32 s23, s25, s23
	s_load_dwordx2 s[22:23], s[22:23], 0x0
	s_waitcnt lgkmcnt(0)
	v_add_f64 v[1:2], s[22:23], 0
.LBB14_2:
	s_or_b32 exec_lo, exec_lo, s1
	s_load_dword s23, s[4:5], 0x0
	s_waitcnt lgkmcnt(0)
	v_cmp_gt_i32_e64 s1, s23, v0
	s_and_saveexec_b32 s22, s1
	s_cbranch_execz .LBB14_8
; %bb.3:
	v_mad_u64_u32 v[5:6], null, s20, v0, 0
	s_mul_i32 s15, s15, s0
	s_mul_hi_u32 s24, s14, s0
	s_mul_i32 s14, s14, s0
	s_add_i32 s15, s24, s15
	v_cndmask_b32_e64 v4, 0, v0, s1
	s_lshl_b64 s[14:15], s[14:15], 3
	v_mov_b32_e32 v3, v6
	s_add_u32 s14, s8, s14
	s_addc_u32 s15, s9, s15
	s_lshl_b64 s[8:9], s[10:11], 3
	v_lshlrev_b32_e32 v6, 3, v4
	v_mad_u64_u32 v[3:4], null, s21, v0, v[3:4]
	s_add_u32 s10, s14, s8
	s_addc_u32 s1, s15, s9
	s_mul_i32 s8, s12, s7
	s_mul_hi_u32 s9, s12, s6
	v_add_co_u32 v4, s10, s10, v6
	s_add_i32 s8, s9, s8
	s_mul_i32 s9, s13, s6
	v_add_co_ci_u32_e64 v7, null, s1, 0, s10
	s_add_i32 s9, s8, s9
	s_mul_i32 s8, s12, s6
	v_mov_b32_e32 v6, v3
	s_lshl_b64 s[8:9], s[8:9], 3
	s_lshl_b64 s[2:3], s[2:3], 3
	v_add_co_u32 v3, s1, v4, s8
	v_add_co_ci_u32_e64 v4, null, s9, v7, s1
	s_lshl_b64 s[8:9], s[18:19], 3
	v_lshlrev_b64 v[5:6], 3, v[5:6]
	s_add_u32 s1, s16, s8
	s_addc_u32 s8, s17, s9
	s_add_u32 s1, s1, s2
	s_addc_u32 s2, s8, s3
	v_mov_b32_e32 v7, v0
	v_add_co_u32 v5, s1, s1, v5
	v_add_co_ci_u32_e64 v6, null, s2, v6, s1
	s_mov_b32 s3, 0
	s_lshl_b64 s[8:9], s[20:21], 12
	s_inst_prefetch 0x1
	s_branch .LBB14_5
	.p2align	6
.LBB14_4:                               ;   in Loop: Header=BB14_5 Depth=1
	s_or_b32 exec_lo, exec_lo, s2
	v_add_nc_u32_e32 v7, 0x200, v7
	v_add_co_u32 v3, s1, 0x1000, v3
	v_add_co_ci_u32_e64 v4, null, 0, v4, s1
	v_cmp_le_i32_e64 s1, s23, v7
	v_add_co_u32 v5, s2, v5, s8
	v_add_co_ci_u32_e64 v6, null, s9, v6, s2
	s_or_b32 s3, s1, s3
	s_andn2_b32 exec_lo, exec_lo, s3
	s_cbranch_execz .LBB14_7
.LBB14_5:                               ; =>This Inner Loop Header: Depth=1
	s_mov_b32 s2, exec_lo
	v_cmpx_gt_i32_e64 s6, v7
	s_cbranch_execz .LBB14_4
; %bb.6:                                ;   in Loop: Header=BB14_5 Depth=1
	global_load_dwordx2 v[8:9], v[3:4], off
	global_load_dwordx2 v[10:11], v[5:6], off
	s_waitcnt vmcnt(0)
	v_fma_f64 v[1:2], v[8:9], v[10:11], v[1:2]
	s_branch .LBB14_4
.LBB14_7:
	s_inst_prefetch 0x2
	s_or_b32 exec_lo, exec_lo, s3
.LBB14_8:
	s_or_b32 exec_lo, exec_lo, s22
	v_and_b32_e32 v10, 31, v0
	v_cmp_gt_u32_e64 s1, 32, v0
	v_lshlrev_b32_e32 v5, 3, v10
	s_and_saveexec_b32 s2, s1
; %bb.9:
	v_mov_b32_e32 v3, 0
	v_mov_b32_e32 v4, v3
	ds_write_b64 v5, v[3:4]
; %bb.10:
	s_or_b32 exec_lo, exec_lo, s2
	v_mbcnt_lo_u32_b32 v9, -1, 0
	s_mov_b32 s3, exec_lo
	s_waitcnt lgkmcnt(0)
	s_barrier
	buffer_gl0_inv
	v_lshl_or_b32 v4, v9, 2, 64
	v_cmp_gt_u32_e64 s2, 24, v9
	ds_bpermute_b32 v3, v4, v1
	ds_bpermute_b32 v4, v4, v2
	s_waitcnt lgkmcnt(0)
	v_add_f64 v[1:2], v[1:2], v[3:4]
	v_cndmask_b32_e64 v3, 0, 8, s2
	v_cmp_gt_u32_e64 s2, 28, v9
	v_add_lshl_u32 v6, v3, v9, 2
	ds_bpermute_b32 v3, v6, v1
	ds_bpermute_b32 v4, v6, v2
	s_waitcnt lgkmcnt(0)
	v_add_f64 v[1:2], v[1:2], v[3:4]
	v_cndmask_b32_e64 v3, 0, 4, s2
	v_cmp_gt_u32_e64 s2, 30, v9
	v_add_lshl_u32 v7, v3, v9, 2
	ds_bpermute_b32 v3, v7, v1
	ds_bpermute_b32 v4, v7, v2
	s_waitcnt lgkmcnt(0)
	v_add_f64 v[1:2], v[1:2], v[3:4]
	v_cndmask_b32_e64 v3, 0, 2, s2
	v_cmp_ne_u32_e64 s2, 31, v9
	v_add_lshl_u32 v8, v3, v9, 2
	ds_bpermute_b32 v3, v8, v1
	ds_bpermute_b32 v4, v8, v2
	s_waitcnt lgkmcnt(0)
	v_add_f64 v[1:2], v[1:2], v[3:4]
	v_add_co_ci_u32_e64 v3, null, 0, v9, s2
	v_lshlrev_b32_e32 v9, 2, v3
	ds_bpermute_b32 v3, v9, v1
	ds_bpermute_b32 v4, v9, v2
	v_cmpx_eq_u32_e32 0, v10
	s_cbranch_execz .LBB14_12
; %bb.11:
	s_waitcnt lgkmcnt(0)
	v_add_f64 v[1:2], v[1:2], v[3:4]
	v_lshrrev_b32_e32 v3, 2, v0
	v_and_b32_e32 v3, 0x78, v3
	ds_write_b64 v3, v[1:2]
.LBB14_12:
	s_or_b32 exec_lo, exec_lo, s3
	v_mov_b32_e32 v1, 0
	v_mov_b32_e32 v2, 0
	s_mov_b32 s3, exec_lo
	s_waitcnt lgkmcnt(0)
	s_barrier
	buffer_gl0_inv
	v_cmpx_gt_u32_e32 16, v0
	s_cbranch_execnz .LBB14_16
; %bb.13:
	s_or_b32 exec_lo, exec_lo, s3
	s_and_saveexec_b32 s2, s1
	s_cbranch_execnz .LBB14_17
.LBB14_14:
	s_or_b32 exec_lo, exec_lo, s2
	s_and_saveexec_b32 s1, vcc_lo
	s_cbranch_execnz .LBB14_18
.LBB14_15:
	s_endpgm
.LBB14_16:
	ds_read_b64 v[1:2], v5
	s_or_b32 exec_lo, exec_lo, s3
	s_and_saveexec_b32 s2, s1
	s_cbranch_execz .LBB14_14
.LBB14_17:
	s_waitcnt lgkmcnt(0)
	ds_bpermute_b32 v3, v6, v1
	ds_bpermute_b32 v4, v6, v2
	s_waitcnt lgkmcnt(0)
	v_add_f64 v[0:1], v[1:2], v[3:4]
	ds_bpermute_b32 v2, v7, v0
	ds_bpermute_b32 v3, v7, v1
	s_waitcnt lgkmcnt(0)
	v_add_f64 v[0:1], v[0:1], v[2:3]
	;; [unrolled: 4-line block ×4, first 2 shown]
	s_or_b32 exec_lo, exec_lo, s2
	s_and_saveexec_b32 s1, vcc_lo
	s_cbranch_execz .LBB14_15
.LBB14_18:
	s_load_dwordx4 s[8:11], s[4:5], 0x48
	v_mov_b32_e32 v0, 0
	s_waitcnt lgkmcnt(0)
	s_mul_i32 s1, s11, s0
	s_mul_hi_u32 s2, s10, s0
	s_mul_i32 s0, s10, s0
	s_add_i32 s1, s2, s1
	s_lshl_b64 s[0:1], s[0:1], 3
	s_add_u32 s2, s8, s0
	s_addc_u32 s3, s9, s1
	s_lshl_b64 s[0:1], s[6:7], 3
	s_add_u32 s0, s2, s0
	s_addc_u32 s1, s3, s1
	global_store_dwordx2 v0, v[1:2], s[0:1]
	s_endpgm
	.section	.rodata,"a",@progbits
	.p2align	6, 0x0
	.amdhsa_kernel _ZL20rocblas_trmvt_kernelILi512ELb0ELb1ELb1EPKdPdS2_EviT3_lllT4_lllT5_li
		.amdhsa_group_segment_fixed_size 256
		.amdhsa_private_segment_fixed_size 0
		.amdhsa_kernarg_size 92
		.amdhsa_user_sgpr_count 6
		.amdhsa_user_sgpr_private_segment_buffer 1
		.amdhsa_user_sgpr_dispatch_ptr 0
		.amdhsa_user_sgpr_queue_ptr 0
		.amdhsa_user_sgpr_kernarg_segment_ptr 1
		.amdhsa_user_sgpr_dispatch_id 0
		.amdhsa_user_sgpr_flat_scratch_init 0
		.amdhsa_user_sgpr_private_segment_size 0
		.amdhsa_wavefront_size32 1
		.amdhsa_uses_dynamic_stack 0
		.amdhsa_system_sgpr_private_segment_wavefront_offset 0
		.amdhsa_system_sgpr_workgroup_id_x 1
		.amdhsa_system_sgpr_workgroup_id_y 0
		.amdhsa_system_sgpr_workgroup_id_z 1
		.amdhsa_system_sgpr_workgroup_info 0
		.amdhsa_system_vgpr_workitem_id 0
		.amdhsa_next_free_vgpr 12
		.amdhsa_next_free_sgpr 27
		.amdhsa_reserve_vcc 1
		.amdhsa_reserve_flat_scratch 0
		.amdhsa_float_round_mode_32 0
		.amdhsa_float_round_mode_16_64 0
		.amdhsa_float_denorm_mode_32 3
		.amdhsa_float_denorm_mode_16_64 3
		.amdhsa_dx10_clamp 1
		.amdhsa_ieee_mode 1
		.amdhsa_fp16_overflow 0
		.amdhsa_workgroup_processor_mode 1
		.amdhsa_memory_ordered 1
		.amdhsa_forward_progress 1
		.amdhsa_shared_vgpr_count 0
		.amdhsa_exception_fp_ieee_invalid_op 0
		.amdhsa_exception_fp_denorm_src 0
		.amdhsa_exception_fp_ieee_div_zero 0
		.amdhsa_exception_fp_ieee_overflow 0
		.amdhsa_exception_fp_ieee_underflow 0
		.amdhsa_exception_fp_ieee_inexact 0
		.amdhsa_exception_int_div_zero 0
	.end_amdhsa_kernel
	.section	.text._ZL20rocblas_trmvt_kernelILi512ELb0ELb1ELb1EPKdPdS2_EviT3_lllT4_lllT5_li,"axG",@progbits,_ZL20rocblas_trmvt_kernelILi512ELb0ELb1ELb1EPKdPdS2_EviT3_lllT4_lllT5_li,comdat
.Lfunc_end14:
	.size	_ZL20rocblas_trmvt_kernelILi512ELb0ELb1ELb1EPKdPdS2_EviT3_lllT4_lllT5_li, .Lfunc_end14-_ZL20rocblas_trmvt_kernelILi512ELb0ELb1ELb1EPKdPdS2_EviT3_lllT4_lllT5_li
                                        ; -- End function
	.set _ZL20rocblas_trmvt_kernelILi512ELb0ELb1ELb1EPKdPdS2_EviT3_lllT4_lllT5_li.num_vgpr, 12
	.set _ZL20rocblas_trmvt_kernelILi512ELb0ELb1ELb1EPKdPdS2_EviT3_lllT4_lllT5_li.num_agpr, 0
	.set _ZL20rocblas_trmvt_kernelILi512ELb0ELb1ELb1EPKdPdS2_EviT3_lllT4_lllT5_li.numbered_sgpr, 27
	.set _ZL20rocblas_trmvt_kernelILi512ELb0ELb1ELb1EPKdPdS2_EviT3_lllT4_lllT5_li.num_named_barrier, 0
	.set _ZL20rocblas_trmvt_kernelILi512ELb0ELb1ELb1EPKdPdS2_EviT3_lllT4_lllT5_li.private_seg_size, 0
	.set _ZL20rocblas_trmvt_kernelILi512ELb0ELb1ELb1EPKdPdS2_EviT3_lllT4_lllT5_li.uses_vcc, 1
	.set _ZL20rocblas_trmvt_kernelILi512ELb0ELb1ELb1EPKdPdS2_EviT3_lllT4_lllT5_li.uses_flat_scratch, 0
	.set _ZL20rocblas_trmvt_kernelILi512ELb0ELb1ELb1EPKdPdS2_EviT3_lllT4_lllT5_li.has_dyn_sized_stack, 0
	.set _ZL20rocblas_trmvt_kernelILi512ELb0ELb1ELb1EPKdPdS2_EviT3_lllT4_lllT5_li.has_recursion, 0
	.set _ZL20rocblas_trmvt_kernelILi512ELb0ELb1ELb1EPKdPdS2_EviT3_lllT4_lllT5_li.has_indirect_call, 0
	.section	.AMDGPU.csdata,"",@progbits
; Kernel info:
; codeLenInByte = 1132
; TotalNumSgprs: 29
; NumVgprs: 12
; ScratchSize: 0
; MemoryBound: 1
; FloatMode: 240
; IeeeMode: 1
; LDSByteSize: 256 bytes/workgroup (compile time only)
; SGPRBlocks: 0
; VGPRBlocks: 1
; NumSGPRsForWavesPerEU: 29
; NumVGPRsForWavesPerEU: 12
; Occupancy: 16
; WaveLimiterHint : 0
; COMPUTE_PGM_RSRC2:SCRATCH_EN: 0
; COMPUTE_PGM_RSRC2:USER_SGPR: 6
; COMPUTE_PGM_RSRC2:TRAP_HANDLER: 0
; COMPUTE_PGM_RSRC2:TGID_X_EN: 1
; COMPUTE_PGM_RSRC2:TGID_Y_EN: 0
; COMPUTE_PGM_RSRC2:TGID_Z_EN: 1
; COMPUTE_PGM_RSRC2:TIDIG_COMP_CNT: 0
	.section	.text._ZL20rocblas_trmvn_kernelILi64ELi16ELb0ELb0EPKdPdS2_EviT3_lllT4_lllT5_li,"axG",@progbits,_ZL20rocblas_trmvn_kernelILi64ELi16ELb0ELb0EPKdPdS2_EviT3_lllT4_lllT5_li,comdat
	.globl	_ZL20rocblas_trmvn_kernelILi64ELi16ELb0ELb0EPKdPdS2_EviT3_lllT4_lllT5_li ; -- Begin function _ZL20rocblas_trmvn_kernelILi64ELi16ELb0ELb0EPKdPdS2_EviT3_lllT4_lllT5_li
	.p2align	8
	.type	_ZL20rocblas_trmvn_kernelILi64ELi16ELb0ELb0EPKdPdS2_EviT3_lllT4_lllT5_li,@function
_ZL20rocblas_trmvn_kernelILi64ELi16ELb0ELb0EPKdPdS2_EviT3_lllT4_lllT5_li: ; @_ZL20rocblas_trmvn_kernelILi64ELi16ELb0ELb0EPKdPdS2_EviT3_lllT4_lllT5_li
; %bb.0:
	s_clause 0x1
	s_load_dwordx16 s[8:23], s[4:5], 0x8
	s_load_dword s24, s[4:5], 0x0
	v_lshl_add_u32 v2, s6, 6, v0
	v_cmp_eq_u32_e64 s0, 0, v1
	v_mov_b32_e32 v4, 0
	v_mov_b32_e32 v5, 0
	s_waitcnt lgkmcnt(0)
	s_mul_i32 s1, s15, s7
	v_cmp_gt_i32_e32 vcc_lo, s24, v2
	s_mul_hi_u32 s2, s14, s7
	s_mul_i32 s6, s23, s7
	s_mul_hi_u32 s15, s22, s7
	s_add_i32 s3, s2, s1
	s_mul_i32 s2, s14, s7
	s_add_i32 s15, s15, s6
	s_mul_i32 s14, s22, s7
	s_and_b32 s0, s0, vcc_lo
	s_and_saveexec_b32 s1, s0
	s_cbranch_execz .LBB15_2
; %bb.1:
	v_ashrrev_i32_e32 v3, 31, v2
	v_mul_lo_u32 v8, v2, s13
	v_mul_lo_u32 v10, s21, v2
	v_mad_u64_u32 v[6:7], null, s20, v2, 0
	v_mul_lo_u32 v9, v3, s12
	v_mad_u64_u32 v[4:5], null, v2, s12, v[2:3]
	v_mul_lo_u32 v3, s20, v3
	s_lshl_b64 s[22:23], s[2:3], 3
	s_add_u32 s0, s8, s22
	s_addc_u32 s6, s9, s23
	s_lshl_b64 s[22:23], s[10:11], 3
	v_add3_u32 v5, v9, v5, v8
	s_add_u32 s0, s0, s22
	v_add3_u32 v7, v7, v3, v10
	s_addc_u32 s6, s6, s23
	s_lshl_b64 s[22:23], s[14:15], 3
	v_lshlrev_b64 v[3:4], 3, v[4:5]
	s_add_u32 s25, s16, s22
	v_lshlrev_b64 v[5:6], 3, v[6:7]
	s_addc_u32 s26, s17, s23
	s_lshl_b64 s[22:23], s[18:19], 3
	s_add_u32 s22, s25, s22
	v_add_co_u32 v3, s0, s0, v3
	s_addc_u32 s23, s26, s23
	v_add_co_ci_u32_e64 v4, null, s6, v4, s0
	v_add_co_u32 v5, s0, s22, v5
	v_add_co_ci_u32_e64 v6, null, s23, v6, s0
	global_load_dwordx2 v[3:4], v[3:4], off
	global_load_dwordx2 v[5:6], v[5:6], off
	s_waitcnt vmcnt(0)
	v_mul_f64 v[4:5], v[3:4], v[5:6]
.LBB15_2:
	s_or_b32 exec_lo, exec_lo, s1
	s_load_dword s6, s[4:5], 0x6c
	s_mov_b32 s22, exec_lo
	v_cmpx_gt_i32_e64 s24, v1
	s_cbranch_execz .LBB15_8
; %bb.3:
	v_mad_u64_u32 v[6:7], null, s12, v1, 0
	v_mad_u64_u32 v[8:9], null, s20, v1, 0
	s_lshl_b64 s[0:1], s[18:19], 3
	s_lshl_b64 s[14:15], s[14:15], 3
	s_add_u32 s0, s16, s0
	v_ashrrev_i32_e32 v3, 31, v2
	s_addc_u32 s1, s17, s1
	s_add_u32 s16, s0, s14
	v_mad_u64_u32 v[10:11], null, s13, v1, v[7:8]
	s_addc_u32 s17, s1, s15
	s_lshl_b64 s[0:1], s[2:3], 3
	s_lshl_b64 s[2:3], s[10:11], 3
	;; [unrolled: 1-line block ×3, first 2 shown]
	s_add_u32 s0, s2, s0
	s_addc_u32 s1, s3, s1
	v_mov_b32_e32 v7, v10
	v_mad_u64_u32 v[9:10], null, s21, v1, v[9:10]
	v_lshlrev_b64 v[10:11], 3, v[2:3]
	s_lshl_b64 s[2:3], s[12:13], 7
	v_lshlrev_b64 v[6:7], 3, v[6:7]
	v_add_co_u32 v3, s0, s0, v6
	v_add_co_ci_u32_e64 v12, null, s1, v7, s0
	v_lshlrev_b64 v[6:7], 3, v[8:9]
	v_add_co_u32 v3, s0, v3, v10
	v_add_co_ci_u32_e64 v9, null, v12, v11, s0
	v_add_co_u32 v6, s0, s16, v6
	v_add_co_ci_u32_e64 v7, null, s17, v7, s0
	v_add_co_u32 v8, s0, s8, v3
	v_add_co_ci_u32_e64 v9, null, s9, v9, s0
	v_mov_b32_e32 v3, v1
	s_mov_b32 s8, 0
	s_inst_prefetch 0x1
	s_branch .LBB15_5
	.p2align	6
.LBB15_4:                               ;   in Loop: Header=BB15_5 Depth=1
	s_or_b32 exec_lo, exec_lo, s1
	v_add_nc_u32_e32 v3, 16, v3
	v_add_co_u32 v6, s0, v6, s14
	v_add_co_ci_u32_e64 v7, null, s15, v7, s0
	v_cmp_le_i32_e64 s0, s24, v3
	v_add_co_u32 v8, s1, v8, s2
	v_add_co_ci_u32_e64 v9, null, s3, v9, s1
	s_or_b32 s8, s0, s8
	s_andn2_b32 exec_lo, exec_lo, s8
	s_cbranch_execz .LBB15_7
.LBB15_5:                               ; =>This Inner Loop Header: Depth=1
	s_mov_b32 s1, exec_lo
	v_cmpx_gt_i32_e64 v3, v2
	s_cbranch_execz .LBB15_4
; %bb.6:                                ;   in Loop: Header=BB15_5 Depth=1
	global_load_dwordx2 v[10:11], v[8:9], off
	global_load_dwordx2 v[12:13], v[6:7], off
	s_waitcnt vmcnt(0)
	v_fma_f64 v[4:5], v[10:11], v[12:13], v[4:5]
	s_branch .LBB15_4
.LBB15_7:
	s_inst_prefetch 0x2
	s_or_b32 exec_lo, exec_lo, s8
.LBB15_8:
	s_or_b32 exec_lo, exec_lo, s22
	v_lshlrev_b32_e32 v3, 3, v0
	s_waitcnt lgkmcnt(0)
	s_and_b32 s1, 0xffff, s6
	s_mov_b32 s2, exec_lo
	v_mad_u32_u24 v0, v1, s1, v0
	v_lshl_add_u32 v6, v1, 9, v3
	ds_write_b64 v6, v[4:5]
	s_waitcnt lgkmcnt(0)
	s_barrier
	buffer_gl0_inv
	v_cmpx_gt_u32_e32 64, v0
	s_cbranch_execz .LBB15_11
; %bb.9:
	v_mul_u32_u24_e32 v0, s1, v1
	v_lshl_add_u32 v11, v0, 3, v3
	ds_read2st64_b64 v[3:6], v11 offset1:1
	ds_read2st64_b64 v[7:10], v11 offset0:2 offset1:3
	s_waitcnt lgkmcnt(1)
	v_add_f64 v[0:1], v[3:4], v[5:6]
	s_waitcnt lgkmcnt(0)
	v_add_f64 v[0:1], v[7:8], v[0:1]
	v_add_f64 v[0:1], v[9:10], v[0:1]
	ds_read2st64_b64 v[3:6], v11 offset0:4 offset1:5
	ds_read2st64_b64 v[7:10], v11 offset0:6 offset1:7
	s_waitcnt lgkmcnt(1)
	v_add_f64 v[0:1], v[3:4], v[0:1]
	v_add_f64 v[0:1], v[5:6], v[0:1]
	s_waitcnt lgkmcnt(0)
	v_add_f64 v[0:1], v[7:8], v[0:1]
	v_add_f64 v[0:1], v[9:10], v[0:1]
	ds_read2st64_b64 v[3:6], v11 offset0:8 offset1:9
	ds_read2st64_b64 v[7:10], v11 offset0:10 offset1:11
	s_waitcnt lgkmcnt(1)
	v_add_f64 v[0:1], v[3:4], v[0:1]
	;; [unrolled: 8-line block ×3, first 2 shown]
	v_add_f64 v[0:1], v[5:6], v[0:1]
	s_waitcnt lgkmcnt(0)
	v_add_f64 v[0:1], v[7:8], v[0:1]
	v_add_f64 v[0:1], v[9:10], v[0:1]
	ds_write_b64 v11, v[0:1]
	s_and_b32 exec_lo, exec_lo, vcc_lo
	s_cbranch_execz .LBB15_11
; %bb.10:
	s_load_dwordx4 s[0:3], s[4:5], 0x48
	v_ashrrev_i32_e32 v3, 31, v2
	v_lshlrev_b64 v[2:3], 3, v[2:3]
	s_waitcnt lgkmcnt(0)
	s_mul_i32 s3, s3, s7
	s_mul_hi_u32 s4, s2, s7
	s_mul_i32 s2, s2, s7
	s_add_i32 s3, s4, s3
	s_lshl_b64 s[2:3], s[2:3], 3
	s_add_u32 s0, s0, s2
	s_addc_u32 s1, s1, s3
	v_add_co_u32 v2, vcc_lo, s0, v2
	v_add_co_ci_u32_e64 v3, null, s1, v3, vcc_lo
	global_store_dwordx2 v[2:3], v[0:1], off
.LBB15_11:
	s_endpgm
	.section	.rodata,"a",@progbits
	.p2align	6, 0x0
	.amdhsa_kernel _ZL20rocblas_trmvn_kernelILi64ELi16ELb0ELb0EPKdPdS2_EviT3_lllT4_lllT5_li
		.amdhsa_group_segment_fixed_size 8192
		.amdhsa_private_segment_fixed_size 0
		.amdhsa_kernarg_size 352
		.amdhsa_user_sgpr_count 6
		.amdhsa_user_sgpr_private_segment_buffer 1
		.amdhsa_user_sgpr_dispatch_ptr 0
		.amdhsa_user_sgpr_queue_ptr 0
		.amdhsa_user_sgpr_kernarg_segment_ptr 1
		.amdhsa_user_sgpr_dispatch_id 0
		.amdhsa_user_sgpr_flat_scratch_init 0
		.amdhsa_user_sgpr_private_segment_size 0
		.amdhsa_wavefront_size32 1
		.amdhsa_uses_dynamic_stack 0
		.amdhsa_system_sgpr_private_segment_wavefront_offset 0
		.amdhsa_system_sgpr_workgroup_id_x 1
		.amdhsa_system_sgpr_workgroup_id_y 0
		.amdhsa_system_sgpr_workgroup_id_z 1
		.amdhsa_system_sgpr_workgroup_info 0
		.amdhsa_system_vgpr_workitem_id 1
		.amdhsa_next_free_vgpr 14
		.amdhsa_next_free_sgpr 27
		.amdhsa_reserve_vcc 1
		.amdhsa_reserve_flat_scratch 0
		.amdhsa_float_round_mode_32 0
		.amdhsa_float_round_mode_16_64 0
		.amdhsa_float_denorm_mode_32 3
		.amdhsa_float_denorm_mode_16_64 3
		.amdhsa_dx10_clamp 1
		.amdhsa_ieee_mode 1
		.amdhsa_fp16_overflow 0
		.amdhsa_workgroup_processor_mode 1
		.amdhsa_memory_ordered 1
		.amdhsa_forward_progress 1
		.amdhsa_shared_vgpr_count 0
		.amdhsa_exception_fp_ieee_invalid_op 0
		.amdhsa_exception_fp_denorm_src 0
		.amdhsa_exception_fp_ieee_div_zero 0
		.amdhsa_exception_fp_ieee_overflow 0
		.amdhsa_exception_fp_ieee_underflow 0
		.amdhsa_exception_fp_ieee_inexact 0
		.amdhsa_exception_int_div_zero 0
	.end_amdhsa_kernel
	.section	.text._ZL20rocblas_trmvn_kernelILi64ELi16ELb0ELb0EPKdPdS2_EviT3_lllT4_lllT5_li,"axG",@progbits,_ZL20rocblas_trmvn_kernelILi64ELi16ELb0ELb0EPKdPdS2_EviT3_lllT4_lllT5_li,comdat
.Lfunc_end15:
	.size	_ZL20rocblas_trmvn_kernelILi64ELi16ELb0ELb0EPKdPdS2_EviT3_lllT4_lllT5_li, .Lfunc_end15-_ZL20rocblas_trmvn_kernelILi64ELi16ELb0ELb0EPKdPdS2_EviT3_lllT4_lllT5_li
                                        ; -- End function
	.set _ZL20rocblas_trmvn_kernelILi64ELi16ELb0ELb0EPKdPdS2_EviT3_lllT4_lllT5_li.num_vgpr, 14
	.set _ZL20rocblas_trmvn_kernelILi64ELi16ELb0ELb0EPKdPdS2_EviT3_lllT4_lllT5_li.num_agpr, 0
	.set _ZL20rocblas_trmvn_kernelILi64ELi16ELb0ELb0EPKdPdS2_EviT3_lllT4_lllT5_li.numbered_sgpr, 27
	.set _ZL20rocblas_trmvn_kernelILi64ELi16ELb0ELb0EPKdPdS2_EviT3_lllT4_lllT5_li.num_named_barrier, 0
	.set _ZL20rocblas_trmvn_kernelILi64ELi16ELb0ELb0EPKdPdS2_EviT3_lllT4_lllT5_li.private_seg_size, 0
	.set _ZL20rocblas_trmvn_kernelILi64ELi16ELb0ELb0EPKdPdS2_EviT3_lllT4_lllT5_li.uses_vcc, 1
	.set _ZL20rocblas_trmvn_kernelILi64ELi16ELb0ELb0EPKdPdS2_EviT3_lllT4_lllT5_li.uses_flat_scratch, 0
	.set _ZL20rocblas_trmvn_kernelILi64ELi16ELb0ELb0EPKdPdS2_EviT3_lllT4_lllT5_li.has_dyn_sized_stack, 0
	.set _ZL20rocblas_trmvn_kernelILi64ELi16ELb0ELb0EPKdPdS2_EviT3_lllT4_lllT5_li.has_recursion, 0
	.set _ZL20rocblas_trmvn_kernelILi64ELi16ELb0ELb0EPKdPdS2_EviT3_lllT4_lllT5_li.has_indirect_call, 0
	.section	.AMDGPU.csdata,"",@progbits
; Kernel info:
; codeLenInByte = 1024
; TotalNumSgprs: 29
; NumVgprs: 14
; ScratchSize: 0
; MemoryBound: 1
; FloatMode: 240
; IeeeMode: 1
; LDSByteSize: 8192 bytes/workgroup (compile time only)
; SGPRBlocks: 0
; VGPRBlocks: 1
; NumSGPRsForWavesPerEU: 29
; NumVGPRsForWavesPerEU: 14
; Occupancy: 16
; WaveLimiterHint : 0
; COMPUTE_PGM_RSRC2:SCRATCH_EN: 0
; COMPUTE_PGM_RSRC2:USER_SGPR: 6
; COMPUTE_PGM_RSRC2:TRAP_HANDLER: 0
; COMPUTE_PGM_RSRC2:TGID_X_EN: 1
; COMPUTE_PGM_RSRC2:TGID_Y_EN: 0
; COMPUTE_PGM_RSRC2:TGID_Z_EN: 1
; COMPUTE_PGM_RSRC2:TIDIG_COMP_CNT: 1
	.section	.text._ZL20rocblas_trmvt_kernelILi512ELb0ELb0ELb0EPKdPdS2_EviT3_lllT4_lllT5_li,"axG",@progbits,_ZL20rocblas_trmvt_kernelILi512ELb0ELb0ELb0EPKdPdS2_EviT3_lllT4_lllT5_li,comdat
	.globl	_ZL20rocblas_trmvt_kernelILi512ELb0ELb0ELb0EPKdPdS2_EviT3_lllT4_lllT5_li ; -- Begin function _ZL20rocblas_trmvt_kernelILi512ELb0ELb0ELb0EPKdPdS2_EviT3_lllT4_lllT5_li
	.p2align	8
	.type	_ZL20rocblas_trmvt_kernelILi512ELb0ELb0ELb0EPKdPdS2_EviT3_lllT4_lllT5_li,@function
_ZL20rocblas_trmvt_kernelILi512ELb0ELb0ELb0EPKdPdS2_EviT3_lllT4_lllT5_li: ; @_ZL20rocblas_trmvt_kernelILi512ELb0ELb0ELb0EPKdPdS2_EviT3_lllT4_lllT5_li
; %bb.0:
	s_clause 0x1
	s_load_dwordx16 s[8:23], s[4:5], 0x8
	s_load_dword s3, s[4:5], 0x0
	s_mov_b32 s0, s7
	v_mov_b32_e32 v1, 0
	v_mov_b32_e32 v2, 0
	s_waitcnt lgkmcnt(0)
	s_mul_i32 s1, s15, s7
	s_mul_hi_u32 s2, s14, s7
	s_mul_i32 s14, s14, s7
	s_add_i32 s15, s2, s1
	v_cmp_gt_i32_e64 s1, s3, v0
	s_lshl_b64 s[14:15], s[14:15], 3
	s_mul_i32 s23, s23, s7
	s_mul_hi_u32 s2, s22, s7
	s_add_u32 s7, s8, s14
	v_cndmask_b32_e64 v3, 0, v0, s1
	s_addc_u32 s14, s9, s15
	s_lshl_b64 s[8:9], s[10:11], 3
	s_mul_hi_u32 s10, s12, s6
	s_add_u32 s11, s7, s8
	s_addc_u32 s14, s14, s9
	s_ashr_i32 s7, s6, 31
	v_lshlrev_b32_e32 v3, 3, v3
	s_mul_i32 s8, s12, s7
	s_mul_i32 s9, s13, s6
	s_add_i32 s10, s10, s8
	s_mul_i32 s8, s12, s6
	s_add_i32 s9, s10, s9
	v_add_co_u32 v3, s10, s11, v3
	v_add_co_ci_u32_e64 v4, null, s14, 0, s10
	s_lshl_b64 s[8:9], s[8:9], 3
	v_add_co_u32 v3, vcc_lo, v3, s8
	v_add_co_ci_u32_e64 v4, null, s9, v4, vcc_lo
	v_cmp_eq_u32_e32 vcc_lo, 0, v0
	s_add_i32 s9, s2, s23
	s_mul_i32 s8, s22, s0
	s_and_saveexec_b32 s10, vcc_lo
	s_cbranch_execz .LBB16_2
; %bb.1:
	s_lshl_b64 s[12:13], s[8:9], 3
	s_add_u32 s2, s16, s12
	s_addc_u32 s11, s17, s13
	s_lshl_b64 s[12:13], s[18:19], 3
	s_add_u32 s14, s2, s12
	s_addc_u32 s11, s11, s13
	s_lshl_b64 s[12:13], s[6:7], 3
	v_add_co_u32 v1, s2, v3, s12
	v_add_co_ci_u32_e64 v2, null, s13, v4, s2
	s_mul_i32 s2, s20, s7
	s_mul_hi_u32 s12, s20, s6
	global_load_dwordx2 v[1:2], v[1:2], off
	s_add_i32 s2, s12, s2
	s_mul_i32 s12, s21, s6
	s_add_i32 s13, s2, s12
	s_mul_i32 s12, s20, s6
	s_lshl_b64 s[12:13], s[12:13], 3
	s_add_u32 s12, s14, s12
	s_addc_u32 s13, s11, s13
	s_load_dwordx2 s[12:13], s[12:13], 0x0
	s_waitcnt vmcnt(0) lgkmcnt(0)
	v_fma_f64 v[1:2], v[1:2], s[12:13], 0
.LBB16_2:
	s_or_b32 exec_lo, exec_lo, s10
	s_and_saveexec_b32 s10, s1
	s_cbranch_execz .LBB16_8
; %bb.3:
	v_mad_u64_u32 v[5:6], null, s20, v0, 0
	s_lshl_b64 s[12:13], s[18:19], 3
	s_lshl_b64 s[8:9], s[8:9], 3
	s_add_u32 s1, s16, s12
	s_addc_u32 s2, s17, s13
	s_add_u32 s1, s1, s8
	s_addc_u32 s2, s2, s9
	v_mad_u64_u32 v[6:7], null, s21, v0, v[6:7]
	v_mov_b32_e32 v7, v0
	s_lshl_b64 s[8:9], s[20:21], 12
	s_mov_b32 s11, 0
	v_lshlrev_b64 v[5:6], 3, v[5:6]
	v_add_co_u32 v5, s1, s1, v5
	v_add_co_ci_u32_e64 v6, null, s2, v6, s1
	s_inst_prefetch 0x1
	s_branch .LBB16_5
	.p2align	6
.LBB16_4:                               ;   in Loop: Header=BB16_5 Depth=1
	s_or_b32 exec_lo, exec_lo, s2
	v_add_nc_u32_e32 v7, 0x200, v7
	v_add_co_u32 v3, s1, 0x1000, v3
	v_add_co_ci_u32_e64 v4, null, 0, v4, s1
	v_cmp_le_i32_e64 s1, s3, v7
	v_add_co_u32 v5, s2, v5, s8
	v_add_co_ci_u32_e64 v6, null, s9, v6, s2
	s_or_b32 s11, s1, s11
	s_andn2_b32 exec_lo, exec_lo, s11
	s_cbranch_execz .LBB16_7
.LBB16_5:                               ; =>This Inner Loop Header: Depth=1
	s_mov_b32 s2, exec_lo
	v_cmpx_gt_i32_e64 s6, v7
	s_cbranch_execz .LBB16_4
; %bb.6:                                ;   in Loop: Header=BB16_5 Depth=1
	global_load_dwordx2 v[8:9], v[3:4], off
	global_load_dwordx2 v[10:11], v[5:6], off
	s_waitcnt vmcnt(0)
	v_fma_f64 v[1:2], v[8:9], v[10:11], v[1:2]
	s_branch .LBB16_4
.LBB16_7:
	s_inst_prefetch 0x2
	s_or_b32 exec_lo, exec_lo, s11
.LBB16_8:
	s_or_b32 exec_lo, exec_lo, s10
	v_and_b32_e32 v10, 31, v0
	v_cmp_gt_u32_e64 s1, 32, v0
	v_lshlrev_b32_e32 v5, 3, v10
	s_and_saveexec_b32 s2, s1
; %bb.9:
	v_mov_b32_e32 v3, 0
	v_mov_b32_e32 v4, v3
	ds_write_b64 v5, v[3:4]
; %bb.10:
	s_or_b32 exec_lo, exec_lo, s2
	v_mbcnt_lo_u32_b32 v9, -1, 0
	s_mov_b32 s3, exec_lo
	s_waitcnt lgkmcnt(0)
	s_barrier
	buffer_gl0_inv
	v_lshl_or_b32 v4, v9, 2, 64
	v_cmp_gt_u32_e64 s2, 24, v9
	ds_bpermute_b32 v3, v4, v1
	ds_bpermute_b32 v4, v4, v2
	s_waitcnt lgkmcnt(0)
	v_add_f64 v[1:2], v[1:2], v[3:4]
	v_cndmask_b32_e64 v3, 0, 8, s2
	v_cmp_gt_u32_e64 s2, 28, v9
	v_add_lshl_u32 v6, v3, v9, 2
	ds_bpermute_b32 v3, v6, v1
	ds_bpermute_b32 v4, v6, v2
	s_waitcnt lgkmcnt(0)
	v_add_f64 v[1:2], v[1:2], v[3:4]
	v_cndmask_b32_e64 v3, 0, 4, s2
	v_cmp_gt_u32_e64 s2, 30, v9
	v_add_lshl_u32 v7, v3, v9, 2
	ds_bpermute_b32 v3, v7, v1
	ds_bpermute_b32 v4, v7, v2
	s_waitcnt lgkmcnt(0)
	v_add_f64 v[1:2], v[1:2], v[3:4]
	v_cndmask_b32_e64 v3, 0, 2, s2
	v_cmp_ne_u32_e64 s2, 31, v9
	v_add_lshl_u32 v8, v3, v9, 2
	ds_bpermute_b32 v3, v8, v1
	ds_bpermute_b32 v4, v8, v2
	s_waitcnt lgkmcnt(0)
	v_add_f64 v[1:2], v[1:2], v[3:4]
	v_add_co_ci_u32_e64 v3, null, 0, v9, s2
	v_lshlrev_b32_e32 v9, 2, v3
	ds_bpermute_b32 v3, v9, v1
	ds_bpermute_b32 v4, v9, v2
	v_cmpx_eq_u32_e32 0, v10
	s_cbranch_execz .LBB16_12
; %bb.11:
	s_waitcnt lgkmcnt(0)
	v_add_f64 v[1:2], v[1:2], v[3:4]
	v_lshrrev_b32_e32 v3, 2, v0
	v_and_b32_e32 v3, 0x78, v3
	ds_write_b64 v3, v[1:2]
.LBB16_12:
	s_or_b32 exec_lo, exec_lo, s3
	v_mov_b32_e32 v1, 0
	v_mov_b32_e32 v2, 0
	s_mov_b32 s3, exec_lo
	s_waitcnt lgkmcnt(0)
	s_barrier
	buffer_gl0_inv
	v_cmpx_gt_u32_e32 16, v0
	s_cbranch_execnz .LBB16_16
; %bb.13:
	s_or_b32 exec_lo, exec_lo, s3
	s_and_saveexec_b32 s2, s1
	s_cbranch_execnz .LBB16_17
.LBB16_14:
	s_or_b32 exec_lo, exec_lo, s2
	s_and_saveexec_b32 s1, vcc_lo
	s_cbranch_execnz .LBB16_18
.LBB16_15:
	s_endpgm
.LBB16_16:
	ds_read_b64 v[1:2], v5
	s_or_b32 exec_lo, exec_lo, s3
	s_and_saveexec_b32 s2, s1
	s_cbranch_execz .LBB16_14
.LBB16_17:
	s_waitcnt lgkmcnt(0)
	ds_bpermute_b32 v3, v6, v1
	ds_bpermute_b32 v4, v6, v2
	s_waitcnt lgkmcnt(0)
	v_add_f64 v[0:1], v[1:2], v[3:4]
	ds_bpermute_b32 v2, v7, v0
	ds_bpermute_b32 v3, v7, v1
	s_waitcnt lgkmcnt(0)
	v_add_f64 v[0:1], v[0:1], v[2:3]
	ds_bpermute_b32 v2, v8, v0
	ds_bpermute_b32 v3, v8, v1
	s_waitcnt lgkmcnt(0)
	v_add_f64 v[0:1], v[0:1], v[2:3]
	ds_bpermute_b32 v2, v9, v0
	ds_bpermute_b32 v3, v9, v1
	s_waitcnt lgkmcnt(0)
	v_add_f64 v[1:2], v[0:1], v[2:3]
	s_or_b32 exec_lo, exec_lo, s2
	s_and_saveexec_b32 s1, vcc_lo
	s_cbranch_execz .LBB16_15
.LBB16_18:
	s_load_dwordx4 s[8:11], s[4:5], 0x48
	v_mov_b32_e32 v0, 0
	s_waitcnt lgkmcnt(0)
	s_mul_i32 s1, s11, s0
	s_mul_hi_u32 s2, s10, s0
	s_mul_i32 s0, s10, s0
	s_add_i32 s1, s2, s1
	s_lshl_b64 s[0:1], s[0:1], 3
	s_add_u32 s2, s8, s0
	s_addc_u32 s3, s9, s1
	s_lshl_b64 s[0:1], s[6:7], 3
	s_add_u32 s0, s2, s0
	s_addc_u32 s1, s3, s1
	global_store_dwordx2 v0, v[1:2], s[0:1]
	s_endpgm
	.section	.rodata,"a",@progbits
	.p2align	6, 0x0
	.amdhsa_kernel _ZL20rocblas_trmvt_kernelILi512ELb0ELb0ELb0EPKdPdS2_EviT3_lllT4_lllT5_li
		.amdhsa_group_segment_fixed_size 256
		.amdhsa_private_segment_fixed_size 0
		.amdhsa_kernarg_size 92
		.amdhsa_user_sgpr_count 6
		.amdhsa_user_sgpr_private_segment_buffer 1
		.amdhsa_user_sgpr_dispatch_ptr 0
		.amdhsa_user_sgpr_queue_ptr 0
		.amdhsa_user_sgpr_kernarg_segment_ptr 1
		.amdhsa_user_sgpr_dispatch_id 0
		.amdhsa_user_sgpr_flat_scratch_init 0
		.amdhsa_user_sgpr_private_segment_size 0
		.amdhsa_wavefront_size32 1
		.amdhsa_uses_dynamic_stack 0
		.amdhsa_system_sgpr_private_segment_wavefront_offset 0
		.amdhsa_system_sgpr_workgroup_id_x 1
		.amdhsa_system_sgpr_workgroup_id_y 0
		.amdhsa_system_sgpr_workgroup_id_z 1
		.amdhsa_system_sgpr_workgroup_info 0
		.amdhsa_system_vgpr_workitem_id 0
		.amdhsa_next_free_vgpr 12
		.amdhsa_next_free_sgpr 24
		.amdhsa_reserve_vcc 1
		.amdhsa_reserve_flat_scratch 0
		.amdhsa_float_round_mode_32 0
		.amdhsa_float_round_mode_16_64 0
		.amdhsa_float_denorm_mode_32 3
		.amdhsa_float_denorm_mode_16_64 3
		.amdhsa_dx10_clamp 1
		.amdhsa_ieee_mode 1
		.amdhsa_fp16_overflow 0
		.amdhsa_workgroup_processor_mode 1
		.amdhsa_memory_ordered 1
		.amdhsa_forward_progress 1
		.amdhsa_shared_vgpr_count 0
		.amdhsa_exception_fp_ieee_invalid_op 0
		.amdhsa_exception_fp_denorm_src 0
		.amdhsa_exception_fp_ieee_div_zero 0
		.amdhsa_exception_fp_ieee_overflow 0
		.amdhsa_exception_fp_ieee_underflow 0
		.amdhsa_exception_fp_ieee_inexact 0
		.amdhsa_exception_int_div_zero 0
	.end_amdhsa_kernel
	.section	.text._ZL20rocblas_trmvt_kernelILi512ELb0ELb0ELb0EPKdPdS2_EviT3_lllT4_lllT5_li,"axG",@progbits,_ZL20rocblas_trmvt_kernelILi512ELb0ELb0ELb0EPKdPdS2_EviT3_lllT4_lllT5_li,comdat
.Lfunc_end16:
	.size	_ZL20rocblas_trmvt_kernelILi512ELb0ELb0ELb0EPKdPdS2_EviT3_lllT4_lllT5_li, .Lfunc_end16-_ZL20rocblas_trmvt_kernelILi512ELb0ELb0ELb0EPKdPdS2_EviT3_lllT4_lllT5_li
                                        ; -- End function
	.set _ZL20rocblas_trmvt_kernelILi512ELb0ELb0ELb0EPKdPdS2_EviT3_lllT4_lllT5_li.num_vgpr, 12
	.set _ZL20rocblas_trmvt_kernelILi512ELb0ELb0ELb0EPKdPdS2_EviT3_lllT4_lllT5_li.num_agpr, 0
	.set _ZL20rocblas_trmvt_kernelILi512ELb0ELb0ELb0EPKdPdS2_EviT3_lllT4_lllT5_li.numbered_sgpr, 24
	.set _ZL20rocblas_trmvt_kernelILi512ELb0ELb0ELb0EPKdPdS2_EviT3_lllT4_lllT5_li.num_named_barrier, 0
	.set _ZL20rocblas_trmvt_kernelILi512ELb0ELb0ELb0EPKdPdS2_EviT3_lllT4_lllT5_li.private_seg_size, 0
	.set _ZL20rocblas_trmvt_kernelILi512ELb0ELb0ELb0EPKdPdS2_EviT3_lllT4_lllT5_li.uses_vcc, 1
	.set _ZL20rocblas_trmvt_kernelILi512ELb0ELb0ELb0EPKdPdS2_EviT3_lllT4_lllT5_li.uses_flat_scratch, 0
	.set _ZL20rocblas_trmvt_kernelILi512ELb0ELb0ELb0EPKdPdS2_EviT3_lllT4_lllT5_li.has_dyn_sized_stack, 0
	.set _ZL20rocblas_trmvt_kernelILi512ELb0ELb0ELb0EPKdPdS2_EviT3_lllT4_lllT5_li.has_recursion, 0
	.set _ZL20rocblas_trmvt_kernelILi512ELb0ELb0ELb0EPKdPdS2_EviT3_lllT4_lllT5_li.has_indirect_call, 0
	.section	.AMDGPU.csdata,"",@progbits
; Kernel info:
; codeLenInByte = 1196
; TotalNumSgprs: 26
; NumVgprs: 12
; ScratchSize: 0
; MemoryBound: 1
; FloatMode: 240
; IeeeMode: 1
; LDSByteSize: 256 bytes/workgroup (compile time only)
; SGPRBlocks: 0
; VGPRBlocks: 1
; NumSGPRsForWavesPerEU: 26
; NumVGPRsForWavesPerEU: 12
; Occupancy: 16
; WaveLimiterHint : 0
; COMPUTE_PGM_RSRC2:SCRATCH_EN: 0
; COMPUTE_PGM_RSRC2:USER_SGPR: 6
; COMPUTE_PGM_RSRC2:TRAP_HANDLER: 0
; COMPUTE_PGM_RSRC2:TGID_X_EN: 1
; COMPUTE_PGM_RSRC2:TGID_Y_EN: 0
; COMPUTE_PGM_RSRC2:TGID_Z_EN: 1
; COMPUTE_PGM_RSRC2:TIDIG_COMP_CNT: 0
	.section	.text._ZL20rocblas_trmvt_kernelILi512ELb0ELb1ELb0EPKdPdS2_EviT3_lllT4_lllT5_li,"axG",@progbits,_ZL20rocblas_trmvt_kernelILi512ELb0ELb1ELb0EPKdPdS2_EviT3_lllT4_lllT5_li,comdat
	.globl	_ZL20rocblas_trmvt_kernelILi512ELb0ELb1ELb0EPKdPdS2_EviT3_lllT4_lllT5_li ; -- Begin function _ZL20rocblas_trmvt_kernelILi512ELb0ELb1ELb0EPKdPdS2_EviT3_lllT4_lllT5_li
	.p2align	8
	.type	_ZL20rocblas_trmvt_kernelILi512ELb0ELb1ELb0EPKdPdS2_EviT3_lllT4_lllT5_li,@function
_ZL20rocblas_trmvt_kernelILi512ELb0ELb1ELb0EPKdPdS2_EviT3_lllT4_lllT5_li: ; @_ZL20rocblas_trmvt_kernelILi512ELb0ELb1ELb0EPKdPdS2_EviT3_lllT4_lllT5_li
; %bb.0:
	s_clause 0x1
	s_load_dwordx16 s[8:23], s[4:5], 0x8
	s_load_dword s3, s[4:5], 0x0
	s_mov_b32 s0, s7
	v_mov_b32_e32 v1, 0
	v_mov_b32_e32 v2, 0
	s_waitcnt lgkmcnt(0)
	s_mul_i32 s1, s15, s7
	s_mul_hi_u32 s2, s14, s7
	s_mul_i32 s14, s14, s7
	s_add_i32 s15, s2, s1
	v_cmp_gt_i32_e64 s1, s3, v0
	s_lshl_b64 s[14:15], s[14:15], 3
	s_mul_i32 s23, s23, s7
	s_mul_hi_u32 s2, s22, s7
	s_add_u32 s7, s8, s14
	v_cndmask_b32_e64 v3, 0, v0, s1
	s_addc_u32 s14, s9, s15
	s_lshl_b64 s[8:9], s[10:11], 3
	s_mul_hi_u32 s10, s12, s6
	s_add_u32 s11, s7, s8
	s_addc_u32 s14, s14, s9
	s_ashr_i32 s7, s6, 31
	v_lshlrev_b32_e32 v3, 3, v3
	s_mul_i32 s8, s12, s7
	s_mul_i32 s9, s13, s6
	s_add_i32 s10, s10, s8
	s_mul_i32 s8, s12, s6
	s_add_i32 s9, s10, s9
	v_add_co_u32 v3, s10, s11, v3
	v_add_co_ci_u32_e64 v4, null, s14, 0, s10
	s_lshl_b64 s[8:9], s[8:9], 3
	v_add_co_u32 v3, vcc_lo, v3, s8
	v_add_co_ci_u32_e64 v4, null, s9, v4, vcc_lo
	v_cmp_eq_u32_e32 vcc_lo, 0, v0
	s_add_i32 s9, s2, s23
	s_mul_i32 s8, s22, s0
	s_and_saveexec_b32 s10, vcc_lo
	s_cbranch_execz .LBB17_2
; %bb.1:
	s_lshl_b64 s[12:13], s[8:9], 3
	s_add_u32 s2, s16, s12
	s_addc_u32 s11, s17, s13
	s_lshl_b64 s[12:13], s[18:19], 3
	s_add_u32 s14, s2, s12
	s_addc_u32 s11, s11, s13
	s_lshl_b64 s[12:13], s[6:7], 3
	v_add_co_u32 v1, s2, v3, s12
	v_add_co_ci_u32_e64 v2, null, s13, v4, s2
	s_mul_i32 s2, s20, s7
	s_mul_hi_u32 s12, s20, s6
	global_load_dwordx2 v[1:2], v[1:2], off
	s_add_i32 s2, s12, s2
	s_mul_i32 s12, s21, s6
	s_add_i32 s13, s2, s12
	s_mul_i32 s12, s20, s6
	s_lshl_b64 s[12:13], s[12:13], 3
	s_add_u32 s12, s14, s12
	s_addc_u32 s13, s11, s13
	s_load_dwordx2 s[12:13], s[12:13], 0x0
	s_waitcnt vmcnt(0) lgkmcnt(0)
	v_fma_f64 v[1:2], v[1:2], s[12:13], 0
.LBB17_2:
	s_or_b32 exec_lo, exec_lo, s10
	s_and_saveexec_b32 s10, s1
	s_cbranch_execz .LBB17_8
; %bb.3:
	v_mad_u64_u32 v[5:6], null, s20, v0, 0
	s_lshl_b64 s[12:13], s[18:19], 3
	s_lshl_b64 s[8:9], s[8:9], 3
	s_add_u32 s1, s16, s12
	s_addc_u32 s2, s17, s13
	s_add_u32 s1, s1, s8
	s_addc_u32 s2, s2, s9
	v_mad_u64_u32 v[6:7], null, s21, v0, v[6:7]
	v_mov_b32_e32 v7, v0
	s_lshl_b64 s[8:9], s[20:21], 12
	s_mov_b32 s11, 0
	v_lshlrev_b64 v[5:6], 3, v[5:6]
	v_add_co_u32 v5, s1, s1, v5
	v_add_co_ci_u32_e64 v6, null, s2, v6, s1
	s_inst_prefetch 0x1
	s_branch .LBB17_5
	.p2align	6
.LBB17_4:                               ;   in Loop: Header=BB17_5 Depth=1
	s_or_b32 exec_lo, exec_lo, s2
	v_add_nc_u32_e32 v7, 0x200, v7
	v_add_co_u32 v3, s1, 0x1000, v3
	v_add_co_ci_u32_e64 v4, null, 0, v4, s1
	v_cmp_le_i32_e64 s1, s3, v7
	v_add_co_u32 v5, s2, v5, s8
	v_add_co_ci_u32_e64 v6, null, s9, v6, s2
	s_or_b32 s11, s1, s11
	s_andn2_b32 exec_lo, exec_lo, s11
	s_cbranch_execz .LBB17_7
.LBB17_5:                               ; =>This Inner Loop Header: Depth=1
	s_mov_b32 s2, exec_lo
	v_cmpx_gt_i32_e64 s6, v7
	s_cbranch_execz .LBB17_4
; %bb.6:                                ;   in Loop: Header=BB17_5 Depth=1
	global_load_dwordx2 v[8:9], v[3:4], off
	global_load_dwordx2 v[10:11], v[5:6], off
	s_waitcnt vmcnt(0)
	v_fma_f64 v[1:2], v[8:9], v[10:11], v[1:2]
	s_branch .LBB17_4
.LBB17_7:
	s_inst_prefetch 0x2
	s_or_b32 exec_lo, exec_lo, s11
.LBB17_8:
	s_or_b32 exec_lo, exec_lo, s10
	v_and_b32_e32 v10, 31, v0
	v_cmp_gt_u32_e64 s1, 32, v0
	v_lshlrev_b32_e32 v5, 3, v10
	s_and_saveexec_b32 s2, s1
; %bb.9:
	v_mov_b32_e32 v3, 0
	v_mov_b32_e32 v4, v3
	ds_write_b64 v5, v[3:4]
; %bb.10:
	s_or_b32 exec_lo, exec_lo, s2
	v_mbcnt_lo_u32_b32 v9, -1, 0
	s_mov_b32 s3, exec_lo
	s_waitcnt lgkmcnt(0)
	s_barrier
	buffer_gl0_inv
	v_lshl_or_b32 v4, v9, 2, 64
	v_cmp_gt_u32_e64 s2, 24, v9
	ds_bpermute_b32 v3, v4, v1
	ds_bpermute_b32 v4, v4, v2
	s_waitcnt lgkmcnt(0)
	v_add_f64 v[1:2], v[1:2], v[3:4]
	v_cndmask_b32_e64 v3, 0, 8, s2
	v_cmp_gt_u32_e64 s2, 28, v9
	v_add_lshl_u32 v6, v3, v9, 2
	ds_bpermute_b32 v3, v6, v1
	ds_bpermute_b32 v4, v6, v2
	s_waitcnt lgkmcnt(0)
	v_add_f64 v[1:2], v[1:2], v[3:4]
	v_cndmask_b32_e64 v3, 0, 4, s2
	v_cmp_gt_u32_e64 s2, 30, v9
	v_add_lshl_u32 v7, v3, v9, 2
	ds_bpermute_b32 v3, v7, v1
	ds_bpermute_b32 v4, v7, v2
	s_waitcnt lgkmcnt(0)
	v_add_f64 v[1:2], v[1:2], v[3:4]
	v_cndmask_b32_e64 v3, 0, 2, s2
	v_cmp_ne_u32_e64 s2, 31, v9
	v_add_lshl_u32 v8, v3, v9, 2
	ds_bpermute_b32 v3, v8, v1
	ds_bpermute_b32 v4, v8, v2
	s_waitcnt lgkmcnt(0)
	v_add_f64 v[1:2], v[1:2], v[3:4]
	v_add_co_ci_u32_e64 v3, null, 0, v9, s2
	v_lshlrev_b32_e32 v9, 2, v3
	ds_bpermute_b32 v3, v9, v1
	ds_bpermute_b32 v4, v9, v2
	v_cmpx_eq_u32_e32 0, v10
	s_cbranch_execz .LBB17_12
; %bb.11:
	s_waitcnt lgkmcnt(0)
	v_add_f64 v[1:2], v[1:2], v[3:4]
	v_lshrrev_b32_e32 v3, 2, v0
	v_and_b32_e32 v3, 0x78, v3
	ds_write_b64 v3, v[1:2]
.LBB17_12:
	s_or_b32 exec_lo, exec_lo, s3
	v_mov_b32_e32 v1, 0
	v_mov_b32_e32 v2, 0
	s_mov_b32 s3, exec_lo
	s_waitcnt lgkmcnt(0)
	s_barrier
	buffer_gl0_inv
	v_cmpx_gt_u32_e32 16, v0
	s_cbranch_execnz .LBB17_16
; %bb.13:
	s_or_b32 exec_lo, exec_lo, s3
	s_and_saveexec_b32 s2, s1
	s_cbranch_execnz .LBB17_17
.LBB17_14:
	s_or_b32 exec_lo, exec_lo, s2
	s_and_saveexec_b32 s1, vcc_lo
	s_cbranch_execnz .LBB17_18
.LBB17_15:
	s_endpgm
.LBB17_16:
	ds_read_b64 v[1:2], v5
	s_or_b32 exec_lo, exec_lo, s3
	s_and_saveexec_b32 s2, s1
	s_cbranch_execz .LBB17_14
.LBB17_17:
	s_waitcnt lgkmcnt(0)
	ds_bpermute_b32 v3, v6, v1
	ds_bpermute_b32 v4, v6, v2
	s_waitcnt lgkmcnt(0)
	v_add_f64 v[0:1], v[1:2], v[3:4]
	ds_bpermute_b32 v2, v7, v0
	ds_bpermute_b32 v3, v7, v1
	s_waitcnt lgkmcnt(0)
	v_add_f64 v[0:1], v[0:1], v[2:3]
	;; [unrolled: 4-line block ×4, first 2 shown]
	s_or_b32 exec_lo, exec_lo, s2
	s_and_saveexec_b32 s1, vcc_lo
	s_cbranch_execz .LBB17_15
.LBB17_18:
	s_load_dwordx4 s[8:11], s[4:5], 0x48
	v_mov_b32_e32 v0, 0
	s_waitcnt lgkmcnt(0)
	s_mul_i32 s1, s11, s0
	s_mul_hi_u32 s2, s10, s0
	s_mul_i32 s0, s10, s0
	s_add_i32 s1, s2, s1
	s_lshl_b64 s[0:1], s[0:1], 3
	s_add_u32 s2, s8, s0
	s_addc_u32 s3, s9, s1
	s_lshl_b64 s[0:1], s[6:7], 3
	s_add_u32 s0, s2, s0
	s_addc_u32 s1, s3, s1
	global_store_dwordx2 v0, v[1:2], s[0:1]
	s_endpgm
	.section	.rodata,"a",@progbits
	.p2align	6, 0x0
	.amdhsa_kernel _ZL20rocblas_trmvt_kernelILi512ELb0ELb1ELb0EPKdPdS2_EviT3_lllT4_lllT5_li
		.amdhsa_group_segment_fixed_size 256
		.amdhsa_private_segment_fixed_size 0
		.amdhsa_kernarg_size 92
		.amdhsa_user_sgpr_count 6
		.amdhsa_user_sgpr_private_segment_buffer 1
		.amdhsa_user_sgpr_dispatch_ptr 0
		.amdhsa_user_sgpr_queue_ptr 0
		.amdhsa_user_sgpr_kernarg_segment_ptr 1
		.amdhsa_user_sgpr_dispatch_id 0
		.amdhsa_user_sgpr_flat_scratch_init 0
		.amdhsa_user_sgpr_private_segment_size 0
		.amdhsa_wavefront_size32 1
		.amdhsa_uses_dynamic_stack 0
		.amdhsa_system_sgpr_private_segment_wavefront_offset 0
		.amdhsa_system_sgpr_workgroup_id_x 1
		.amdhsa_system_sgpr_workgroup_id_y 0
		.amdhsa_system_sgpr_workgroup_id_z 1
		.amdhsa_system_sgpr_workgroup_info 0
		.amdhsa_system_vgpr_workitem_id 0
		.amdhsa_next_free_vgpr 12
		.amdhsa_next_free_sgpr 24
		.amdhsa_reserve_vcc 1
		.amdhsa_reserve_flat_scratch 0
		.amdhsa_float_round_mode_32 0
		.amdhsa_float_round_mode_16_64 0
		.amdhsa_float_denorm_mode_32 3
		.amdhsa_float_denorm_mode_16_64 3
		.amdhsa_dx10_clamp 1
		.amdhsa_ieee_mode 1
		.amdhsa_fp16_overflow 0
		.amdhsa_workgroup_processor_mode 1
		.amdhsa_memory_ordered 1
		.amdhsa_forward_progress 1
		.amdhsa_shared_vgpr_count 0
		.amdhsa_exception_fp_ieee_invalid_op 0
		.amdhsa_exception_fp_denorm_src 0
		.amdhsa_exception_fp_ieee_div_zero 0
		.amdhsa_exception_fp_ieee_overflow 0
		.amdhsa_exception_fp_ieee_underflow 0
		.amdhsa_exception_fp_ieee_inexact 0
		.amdhsa_exception_int_div_zero 0
	.end_amdhsa_kernel
	.section	.text._ZL20rocblas_trmvt_kernelILi512ELb0ELb1ELb0EPKdPdS2_EviT3_lllT4_lllT5_li,"axG",@progbits,_ZL20rocblas_trmvt_kernelILi512ELb0ELb1ELb0EPKdPdS2_EviT3_lllT4_lllT5_li,comdat
.Lfunc_end17:
	.size	_ZL20rocblas_trmvt_kernelILi512ELb0ELb1ELb0EPKdPdS2_EviT3_lllT4_lllT5_li, .Lfunc_end17-_ZL20rocblas_trmvt_kernelILi512ELb0ELb1ELb0EPKdPdS2_EviT3_lllT4_lllT5_li
                                        ; -- End function
	.set _ZL20rocblas_trmvt_kernelILi512ELb0ELb1ELb0EPKdPdS2_EviT3_lllT4_lllT5_li.num_vgpr, 12
	.set _ZL20rocblas_trmvt_kernelILi512ELb0ELb1ELb0EPKdPdS2_EviT3_lllT4_lllT5_li.num_agpr, 0
	.set _ZL20rocblas_trmvt_kernelILi512ELb0ELb1ELb0EPKdPdS2_EviT3_lllT4_lllT5_li.numbered_sgpr, 24
	.set _ZL20rocblas_trmvt_kernelILi512ELb0ELb1ELb0EPKdPdS2_EviT3_lllT4_lllT5_li.num_named_barrier, 0
	.set _ZL20rocblas_trmvt_kernelILi512ELb0ELb1ELb0EPKdPdS2_EviT3_lllT4_lllT5_li.private_seg_size, 0
	.set _ZL20rocblas_trmvt_kernelILi512ELb0ELb1ELb0EPKdPdS2_EviT3_lllT4_lllT5_li.uses_vcc, 1
	.set _ZL20rocblas_trmvt_kernelILi512ELb0ELb1ELb0EPKdPdS2_EviT3_lllT4_lllT5_li.uses_flat_scratch, 0
	.set _ZL20rocblas_trmvt_kernelILi512ELb0ELb1ELb0EPKdPdS2_EviT3_lllT4_lllT5_li.has_dyn_sized_stack, 0
	.set _ZL20rocblas_trmvt_kernelILi512ELb0ELb1ELb0EPKdPdS2_EviT3_lllT4_lllT5_li.has_recursion, 0
	.set _ZL20rocblas_trmvt_kernelILi512ELb0ELb1ELb0EPKdPdS2_EviT3_lllT4_lllT5_li.has_indirect_call, 0
	.section	.AMDGPU.csdata,"",@progbits
; Kernel info:
; codeLenInByte = 1196
; TotalNumSgprs: 26
; NumVgprs: 12
; ScratchSize: 0
; MemoryBound: 1
; FloatMode: 240
; IeeeMode: 1
; LDSByteSize: 256 bytes/workgroup (compile time only)
; SGPRBlocks: 0
; VGPRBlocks: 1
; NumSGPRsForWavesPerEU: 26
; NumVGPRsForWavesPerEU: 12
; Occupancy: 16
; WaveLimiterHint : 0
; COMPUTE_PGM_RSRC2:SCRATCH_EN: 0
; COMPUTE_PGM_RSRC2:USER_SGPR: 6
; COMPUTE_PGM_RSRC2:TRAP_HANDLER: 0
; COMPUTE_PGM_RSRC2:TGID_X_EN: 1
; COMPUTE_PGM_RSRC2:TGID_Y_EN: 0
; COMPUTE_PGM_RSRC2:TGID_Z_EN: 1
; COMPUTE_PGM_RSRC2:TIDIG_COMP_CNT: 0
	.section	.text._ZL20rocblas_trmvn_kernelILi64ELi16ELb1ELb1EPKdPdS2_EviT3_lllT4_lllT5_li,"axG",@progbits,_ZL20rocblas_trmvn_kernelILi64ELi16ELb1ELb1EPKdPdS2_EviT3_lllT4_lllT5_li,comdat
	.globl	_ZL20rocblas_trmvn_kernelILi64ELi16ELb1ELb1EPKdPdS2_EviT3_lllT4_lllT5_li ; -- Begin function _ZL20rocblas_trmvn_kernelILi64ELi16ELb1ELb1EPKdPdS2_EviT3_lllT4_lllT5_li
	.p2align	8
	.type	_ZL20rocblas_trmvn_kernelILi64ELi16ELb1ELb1EPKdPdS2_EviT3_lllT4_lllT5_li,@function
_ZL20rocblas_trmvn_kernelILi64ELi16ELb1ELb1EPKdPdS2_EviT3_lllT4_lllT5_li: ; @_ZL20rocblas_trmvn_kernelILi64ELi16ELb1ELb1EPKdPdS2_EviT3_lllT4_lllT5_li
; %bb.0:
	s_clause 0x1
	s_load_dwordx16 s[8:23], s[4:5], 0x8
	s_load_dword s24, s[4:5], 0x0
	v_lshl_add_u32 v2, s6, 6, v0
	v_cmp_eq_u32_e64 s0, 0, v1
	v_mov_b32_e32 v4, 0
	v_mov_b32_e32 v5, 0
	s_waitcnt lgkmcnt(0)
	s_mul_i32 s1, s23, s7
	v_cmp_gt_i32_e32 vcc_lo, s24, v2
	s_mul_hi_u32 s2, s22, s7
	s_add_i32 s3, s2, s1
	s_mul_i32 s2, s22, s7
	s_and_b32 s0, s0, vcc_lo
	s_and_saveexec_b32 s1, s0
	s_cbranch_execz .LBB18_2
; %bb.1:
	v_ashrrev_i32_e32 v5, 31, v2
	v_mul_lo_u32 v6, s21, v2
	v_mad_u64_u32 v[3:4], null, s20, v2, 0
	s_lshl_b64 s[22:23], s[2:3], 3
	v_mul_lo_u32 v5, s20, v5
	s_add_u32 s0, s16, s22
	s_addc_u32 s6, s17, s23
	s_lshl_b64 s[22:23], s[18:19], 3
	s_add_u32 s0, s0, s22
	s_addc_u32 s6, s6, s23
	v_add3_u32 v4, v4, v5, v6
	v_lshlrev_b64 v[3:4], 3, v[3:4]
	v_add_co_u32 v3, s0, s0, v3
	v_add_co_ci_u32_e64 v4, null, s6, v4, s0
	global_load_dwordx2 v[4:5], v[3:4], off
.LBB18_2:
	s_or_b32 exec_lo, exec_lo, s1
	s_load_dword s6, s[4:5], 0x6c
	s_mov_b32 s22, exec_lo
	v_cmpx_gt_i32_e64 s24, v1
	s_cbranch_execz .LBB18_8
; %bb.3:
	v_mad_u64_u32 v[6:7], null, s12, v1, 0
	v_mad_u64_u32 v[8:9], null, s20, v1, 0
	s_lshl_b64 s[0:1], s[2:3], 3
	s_lshl_b64 s[2:3], s[18:19], 3
	s_mul_i32 s15, s15, s7
	s_add_u32 s2, s16, s2
	s_mul_hi_u32 s18, s14, s7
	s_addc_u32 s3, s17, s3
	v_mad_u64_u32 v[10:11], null, s13, v1, v[7:8]
	s_add_u32 s16, s2, s0
	v_ashrrev_i32_e32 v3, 31, v2
	s_mul_i32 s14, s14, s7
	s_addc_u32 s17, s3, s1
	s_add_i32 s15, s18, s15
	s_lshl_b64 s[0:1], s[10:11], 3
	v_mov_b32_e32 v7, v10
	v_mad_u64_u32 v[9:10], null, s21, v1, v[9:10]
	s_lshl_b64 s[10:11], s[14:15], 3
	s_lshl_b64 s[2:3], s[20:21], 7
	v_lshlrev_b64 v[6:7], 3, v[6:7]
	s_add_u32 s0, s0, s10
	v_lshlrev_b64 v[10:11], 3, v[2:3]
	s_addc_u32 s1, s1, s11
	s_mov_b32 s10, 0
	v_add_co_u32 v3, s0, s0, v6
	v_add_co_ci_u32_e64 v12, null, s1, v7, s0
	v_lshlrev_b64 v[6:7], 3, v[8:9]
	v_add_co_u32 v3, s0, v3, v10
	v_add_co_ci_u32_e64 v9, null, v12, v11, s0
	v_add_co_u32 v6, s0, s16, v6
	v_add_co_ci_u32_e64 v7, null, s17, v7, s0
	;; [unrolled: 2-line block ×3, first 2 shown]
	v_mov_b32_e32 v3, v1
	s_lshl_b64 s[8:9], s[12:13], 7
	s_inst_prefetch 0x1
	s_branch .LBB18_5
	.p2align	6
.LBB18_4:                               ;   in Loop: Header=BB18_5 Depth=1
	s_or_b32 exec_lo, exec_lo, s0
	v_add_nc_u32_e32 v3, 16, v3
	v_add_co_u32 v6, s0, v6, s2
	v_add_co_ci_u32_e64 v7, null, s3, v7, s0
	v_cmp_le_i32_e64 s0, s24, v3
	v_add_co_u32 v8, s1, v8, s8
	v_add_co_ci_u32_e64 v9, null, s9, v9, s1
	s_or_b32 s10, s0, s10
	s_andn2_b32 exec_lo, exec_lo, s10
	s_cbranch_execz .LBB18_7
.LBB18_5:                               ; =>This Inner Loop Header: Depth=1
	v_cmp_lt_i32_e64 s0, v3, v2
	s_and_b32 s1, vcc_lo, s0
	s_and_saveexec_b32 s0, s1
	s_cbranch_execz .LBB18_4
; %bb.6:                                ;   in Loop: Header=BB18_5 Depth=1
	global_load_dwordx2 v[10:11], v[8:9], off
	global_load_dwordx2 v[12:13], v[6:7], off
	s_waitcnt vmcnt(0)
	v_fma_f64 v[4:5], v[10:11], v[12:13], v[4:5]
	s_branch .LBB18_4
.LBB18_7:
	s_inst_prefetch 0x2
	s_or_b32 exec_lo, exec_lo, s10
.LBB18_8:
	s_or_b32 exec_lo, exec_lo, s22
	v_lshlrev_b32_e32 v3, 3, v0
	s_waitcnt lgkmcnt(0)
	s_and_b32 s1, 0xffff, s6
	s_mov_b32 s2, exec_lo
	v_mad_u32_u24 v0, v1, s1, v0
	v_lshl_add_u32 v6, v1, 9, v3
	s_waitcnt vmcnt(0)
	ds_write_b64 v6, v[4:5]
	s_waitcnt lgkmcnt(0)
	s_barrier
	buffer_gl0_inv
	v_cmpx_gt_u32_e32 64, v0
	s_cbranch_execz .LBB18_11
; %bb.9:
	v_mul_u32_u24_e32 v0, s1, v1
	v_lshl_add_u32 v11, v0, 3, v3
	ds_read2st64_b64 v[3:6], v11 offset1:1
	ds_read2st64_b64 v[7:10], v11 offset0:2 offset1:3
	s_waitcnt lgkmcnt(1)
	v_add_f64 v[0:1], v[3:4], v[5:6]
	s_waitcnt lgkmcnt(0)
	v_add_f64 v[0:1], v[7:8], v[0:1]
	v_add_f64 v[0:1], v[9:10], v[0:1]
	ds_read2st64_b64 v[3:6], v11 offset0:4 offset1:5
	ds_read2st64_b64 v[7:10], v11 offset0:6 offset1:7
	s_waitcnt lgkmcnt(1)
	v_add_f64 v[0:1], v[3:4], v[0:1]
	v_add_f64 v[0:1], v[5:6], v[0:1]
	s_waitcnt lgkmcnt(0)
	v_add_f64 v[0:1], v[7:8], v[0:1]
	v_add_f64 v[0:1], v[9:10], v[0:1]
	ds_read2st64_b64 v[3:6], v11 offset0:8 offset1:9
	ds_read2st64_b64 v[7:10], v11 offset0:10 offset1:11
	s_waitcnt lgkmcnt(1)
	v_add_f64 v[0:1], v[3:4], v[0:1]
	;; [unrolled: 8-line block ×3, first 2 shown]
	v_add_f64 v[0:1], v[5:6], v[0:1]
	s_waitcnt lgkmcnt(0)
	v_add_f64 v[0:1], v[7:8], v[0:1]
	v_add_f64 v[0:1], v[9:10], v[0:1]
	ds_write_b64 v11, v[0:1]
	s_and_b32 exec_lo, exec_lo, vcc_lo
	s_cbranch_execz .LBB18_11
; %bb.10:
	s_load_dwordx4 s[0:3], s[4:5], 0x48
	v_ashrrev_i32_e32 v3, 31, v2
	v_lshlrev_b64 v[2:3], 3, v[2:3]
	s_waitcnt lgkmcnt(0)
	s_mul_i32 s3, s3, s7
	s_mul_hi_u32 s4, s2, s7
	s_mul_i32 s2, s2, s7
	s_add_i32 s3, s4, s3
	s_lshl_b64 s[2:3], s[2:3], 3
	s_add_u32 s0, s0, s2
	s_addc_u32 s1, s1, s3
	v_add_co_u32 v2, vcc_lo, s0, v2
	v_add_co_ci_u32_e64 v3, null, s1, v3, vcc_lo
	global_store_dwordx2 v[2:3], v[0:1], off
.LBB18_11:
	s_endpgm
	.section	.rodata,"a",@progbits
	.p2align	6, 0x0
	.amdhsa_kernel _ZL20rocblas_trmvn_kernelILi64ELi16ELb1ELb1EPKdPdS2_EviT3_lllT4_lllT5_li
		.amdhsa_group_segment_fixed_size 8192
		.amdhsa_private_segment_fixed_size 0
		.amdhsa_kernarg_size 352
		.amdhsa_user_sgpr_count 6
		.amdhsa_user_sgpr_private_segment_buffer 1
		.amdhsa_user_sgpr_dispatch_ptr 0
		.amdhsa_user_sgpr_queue_ptr 0
		.amdhsa_user_sgpr_kernarg_segment_ptr 1
		.amdhsa_user_sgpr_dispatch_id 0
		.amdhsa_user_sgpr_flat_scratch_init 0
		.amdhsa_user_sgpr_private_segment_size 0
		.amdhsa_wavefront_size32 1
		.amdhsa_uses_dynamic_stack 0
		.amdhsa_system_sgpr_private_segment_wavefront_offset 0
		.amdhsa_system_sgpr_workgroup_id_x 1
		.amdhsa_system_sgpr_workgroup_id_y 0
		.amdhsa_system_sgpr_workgroup_id_z 1
		.amdhsa_system_sgpr_workgroup_info 0
		.amdhsa_system_vgpr_workitem_id 1
		.amdhsa_next_free_vgpr 14
		.amdhsa_next_free_sgpr 25
		.amdhsa_reserve_vcc 1
		.amdhsa_reserve_flat_scratch 0
		.amdhsa_float_round_mode_32 0
		.amdhsa_float_round_mode_16_64 0
		.amdhsa_float_denorm_mode_32 3
		.amdhsa_float_denorm_mode_16_64 3
		.amdhsa_dx10_clamp 1
		.amdhsa_ieee_mode 1
		.amdhsa_fp16_overflow 0
		.amdhsa_workgroup_processor_mode 1
		.amdhsa_memory_ordered 1
		.amdhsa_forward_progress 1
		.amdhsa_shared_vgpr_count 0
		.amdhsa_exception_fp_ieee_invalid_op 0
		.amdhsa_exception_fp_denorm_src 0
		.amdhsa_exception_fp_ieee_div_zero 0
		.amdhsa_exception_fp_ieee_overflow 0
		.amdhsa_exception_fp_ieee_underflow 0
		.amdhsa_exception_fp_ieee_inexact 0
		.amdhsa_exception_int_div_zero 0
	.end_amdhsa_kernel
	.section	.text._ZL20rocblas_trmvn_kernelILi64ELi16ELb1ELb1EPKdPdS2_EviT3_lllT4_lllT5_li,"axG",@progbits,_ZL20rocblas_trmvn_kernelILi64ELi16ELb1ELb1EPKdPdS2_EviT3_lllT4_lllT5_li,comdat
.Lfunc_end18:
	.size	_ZL20rocblas_trmvn_kernelILi64ELi16ELb1ELb1EPKdPdS2_EviT3_lllT4_lllT5_li, .Lfunc_end18-_ZL20rocblas_trmvn_kernelILi64ELi16ELb1ELb1EPKdPdS2_EviT3_lllT4_lllT5_li
                                        ; -- End function
	.set _ZL20rocblas_trmvn_kernelILi64ELi16ELb1ELb1EPKdPdS2_EviT3_lllT4_lllT5_li.num_vgpr, 14
	.set _ZL20rocblas_trmvn_kernelILi64ELi16ELb1ELb1EPKdPdS2_EviT3_lllT4_lllT5_li.num_agpr, 0
	.set _ZL20rocblas_trmvn_kernelILi64ELi16ELb1ELb1EPKdPdS2_EviT3_lllT4_lllT5_li.numbered_sgpr, 25
	.set _ZL20rocblas_trmvn_kernelILi64ELi16ELb1ELb1EPKdPdS2_EviT3_lllT4_lllT5_li.num_named_barrier, 0
	.set _ZL20rocblas_trmvn_kernelILi64ELi16ELb1ELb1EPKdPdS2_EviT3_lllT4_lllT5_li.private_seg_size, 0
	.set _ZL20rocblas_trmvn_kernelILi64ELi16ELb1ELb1EPKdPdS2_EviT3_lllT4_lllT5_li.uses_vcc, 1
	.set _ZL20rocblas_trmvn_kernelILi64ELi16ELb1ELb1EPKdPdS2_EviT3_lllT4_lllT5_li.uses_flat_scratch, 0
	.set _ZL20rocblas_trmvn_kernelILi64ELi16ELb1ELb1EPKdPdS2_EviT3_lllT4_lllT5_li.has_dyn_sized_stack, 0
	.set _ZL20rocblas_trmvn_kernelILi64ELi16ELb1ELb1EPKdPdS2_EviT3_lllT4_lllT5_li.has_recursion, 0
	.set _ZL20rocblas_trmvn_kernelILi64ELi16ELb1ELb1EPKdPdS2_EviT3_lllT4_lllT5_li.has_indirect_call, 0
	.section	.AMDGPU.csdata,"",@progbits
; Kernel info:
; codeLenInByte = 968
; TotalNumSgprs: 27
; NumVgprs: 14
; ScratchSize: 0
; MemoryBound: 1
; FloatMode: 240
; IeeeMode: 1
; LDSByteSize: 8192 bytes/workgroup (compile time only)
; SGPRBlocks: 0
; VGPRBlocks: 1
; NumSGPRsForWavesPerEU: 27
; NumVGPRsForWavesPerEU: 14
; Occupancy: 16
; WaveLimiterHint : 0
; COMPUTE_PGM_RSRC2:SCRATCH_EN: 0
; COMPUTE_PGM_RSRC2:USER_SGPR: 6
; COMPUTE_PGM_RSRC2:TRAP_HANDLER: 0
; COMPUTE_PGM_RSRC2:TGID_X_EN: 1
; COMPUTE_PGM_RSRC2:TGID_Y_EN: 0
; COMPUTE_PGM_RSRC2:TGID_Z_EN: 1
; COMPUTE_PGM_RSRC2:TIDIG_COMP_CNT: 1
	.section	.text._ZL20rocblas_trmvt_kernelILi512ELb1ELb0ELb1EPKdPdS2_EviT3_lllT4_lllT5_li,"axG",@progbits,_ZL20rocblas_trmvt_kernelILi512ELb1ELb0ELb1EPKdPdS2_EviT3_lllT4_lllT5_li,comdat
	.globl	_ZL20rocblas_trmvt_kernelILi512ELb1ELb0ELb1EPKdPdS2_EviT3_lllT4_lllT5_li ; -- Begin function _ZL20rocblas_trmvt_kernelILi512ELb1ELb0ELb1EPKdPdS2_EviT3_lllT4_lllT5_li
	.p2align	8
	.type	_ZL20rocblas_trmvt_kernelILi512ELb1ELb0ELb1EPKdPdS2_EviT3_lllT4_lllT5_li,@function
_ZL20rocblas_trmvt_kernelILi512ELb1ELb0ELb1EPKdPdS2_EviT3_lllT4_lllT5_li: ; @_ZL20rocblas_trmvt_kernelILi512ELb1ELb0ELb1EPKdPdS2_EviT3_lllT4_lllT5_li
; %bb.0:
	s_load_dwordx16 s[8:23], s[4:5], 0x8
	v_mov_b32_e32 v1, 0
	v_mov_b32_e32 v2, 0
	v_cmp_eq_u32_e32 vcc_lo, 0, v0
	s_mov_b32 s0, s7
	s_waitcnt lgkmcnt(0)
	s_mul_i32 s1, s23, s7
	s_mul_hi_u32 s3, s22, s7
	s_mul_i32 s2, s22, s7
	s_add_i32 s3, s3, s1
	s_ashr_i32 s7, s6, 31
	s_and_saveexec_b32 s1, vcc_lo
	s_cbranch_execz .LBB19_2
; %bb.1:
	s_lshl_b64 s[22:23], s[2:3], 3
	s_mul_i32 s26, s20, s7
	s_add_u32 s24, s16, s22
	s_addc_u32 s25, s17, s23
	s_lshl_b64 s[22:23], s[18:19], 3
	s_add_u32 s24, s24, s22
	s_mul_hi_u32 s22, s20, s6
	s_addc_u32 s25, s25, s23
	s_add_i32 s22, s22, s26
	s_mul_i32 s23, s21, s6
	s_add_i32 s23, s22, s23
	s_mul_i32 s22, s20, s6
	s_lshl_b64 s[22:23], s[22:23], 3
	s_add_u32 s22, s24, s22
	s_addc_u32 s23, s25, s23
	s_load_dwordx2 s[22:23], s[22:23], 0x0
	s_waitcnt lgkmcnt(0)
	v_add_f64 v[1:2], s[22:23], 0
.LBB19_2:
	s_or_b32 exec_lo, exec_lo, s1
	s_load_dword s23, s[4:5], 0x0
	s_waitcnt lgkmcnt(0)
	v_cmp_gt_i32_e64 s1, s23, v0
	s_and_saveexec_b32 s22, s1
	s_cbranch_execz .LBB19_8
; %bb.3:
	v_mad_u64_u32 v[5:6], null, s20, v0, 0
	s_mul_i32 s15, s15, s0
	s_mul_hi_u32 s24, s14, s0
	s_mul_i32 s14, s14, s0
	s_add_i32 s15, s24, s15
	v_cndmask_b32_e64 v4, 0, v0, s1
	s_lshl_b64 s[14:15], s[14:15], 3
	v_mov_b32_e32 v3, v6
	s_add_u32 s14, s8, s14
	s_addc_u32 s15, s9, s15
	s_lshl_b64 s[8:9], s[10:11], 3
	v_lshlrev_b32_e32 v6, 3, v4
	v_mad_u64_u32 v[3:4], null, s21, v0, v[3:4]
	s_add_u32 s10, s14, s8
	s_addc_u32 s1, s15, s9
	s_mul_i32 s8, s12, s7
	s_mul_hi_u32 s9, s12, s6
	v_add_co_u32 v4, s10, s10, v6
	s_add_i32 s8, s9, s8
	s_mul_i32 s9, s13, s6
	v_add_co_ci_u32_e64 v7, null, s1, 0, s10
	s_add_i32 s9, s8, s9
	s_mul_i32 s8, s12, s6
	v_mov_b32_e32 v6, v3
	s_lshl_b64 s[8:9], s[8:9], 3
	s_lshl_b64 s[2:3], s[2:3], 3
	v_add_co_u32 v3, s1, v4, s8
	v_add_co_ci_u32_e64 v4, null, s9, v7, s1
	s_lshl_b64 s[8:9], s[18:19], 3
	v_lshlrev_b64 v[5:6], 3, v[5:6]
	s_add_u32 s1, s16, s8
	s_addc_u32 s8, s17, s9
	s_add_u32 s1, s1, s2
	s_addc_u32 s2, s8, s3
	v_mov_b32_e32 v7, v0
	v_add_co_u32 v5, s1, s1, v5
	v_add_co_ci_u32_e64 v6, null, s2, v6, s1
	s_mov_b32 s3, 0
	s_lshl_b64 s[8:9], s[20:21], 12
	s_inst_prefetch 0x1
	s_branch .LBB19_5
	.p2align	6
.LBB19_4:                               ;   in Loop: Header=BB19_5 Depth=1
	s_or_b32 exec_lo, exec_lo, s2
	v_add_nc_u32_e32 v7, 0x200, v7
	v_add_co_u32 v3, s1, 0x1000, v3
	v_add_co_ci_u32_e64 v4, null, 0, v4, s1
	v_cmp_le_i32_e64 s1, s23, v7
	v_add_co_u32 v5, s2, v5, s8
	v_add_co_ci_u32_e64 v6, null, s9, v6, s2
	s_or_b32 s3, s1, s3
	s_andn2_b32 exec_lo, exec_lo, s3
	s_cbranch_execz .LBB19_7
.LBB19_5:                               ; =>This Inner Loop Header: Depth=1
	s_mov_b32 s2, exec_lo
	v_cmpx_lt_i32_e64 s6, v7
	s_cbranch_execz .LBB19_4
; %bb.6:                                ;   in Loop: Header=BB19_5 Depth=1
	global_load_dwordx2 v[8:9], v[3:4], off
	global_load_dwordx2 v[10:11], v[5:6], off
	s_waitcnt vmcnt(0)
	v_fma_f64 v[1:2], v[8:9], v[10:11], v[1:2]
	s_branch .LBB19_4
.LBB19_7:
	s_inst_prefetch 0x2
	s_or_b32 exec_lo, exec_lo, s3
.LBB19_8:
	s_or_b32 exec_lo, exec_lo, s22
	v_and_b32_e32 v10, 31, v0
	v_cmp_gt_u32_e64 s1, 32, v0
	v_lshlrev_b32_e32 v5, 3, v10
	s_and_saveexec_b32 s2, s1
; %bb.9:
	v_mov_b32_e32 v3, 0
	v_mov_b32_e32 v4, v3
	ds_write_b64 v5, v[3:4]
; %bb.10:
	s_or_b32 exec_lo, exec_lo, s2
	v_mbcnt_lo_u32_b32 v9, -1, 0
	s_mov_b32 s3, exec_lo
	s_waitcnt lgkmcnt(0)
	s_barrier
	buffer_gl0_inv
	v_lshl_or_b32 v4, v9, 2, 64
	v_cmp_gt_u32_e64 s2, 24, v9
	ds_bpermute_b32 v3, v4, v1
	ds_bpermute_b32 v4, v4, v2
	s_waitcnt lgkmcnt(0)
	v_add_f64 v[1:2], v[1:2], v[3:4]
	v_cndmask_b32_e64 v3, 0, 8, s2
	v_cmp_gt_u32_e64 s2, 28, v9
	v_add_lshl_u32 v6, v3, v9, 2
	ds_bpermute_b32 v3, v6, v1
	ds_bpermute_b32 v4, v6, v2
	s_waitcnt lgkmcnt(0)
	v_add_f64 v[1:2], v[1:2], v[3:4]
	v_cndmask_b32_e64 v3, 0, 4, s2
	v_cmp_gt_u32_e64 s2, 30, v9
	v_add_lshl_u32 v7, v3, v9, 2
	ds_bpermute_b32 v3, v7, v1
	ds_bpermute_b32 v4, v7, v2
	s_waitcnt lgkmcnt(0)
	v_add_f64 v[1:2], v[1:2], v[3:4]
	v_cndmask_b32_e64 v3, 0, 2, s2
	v_cmp_ne_u32_e64 s2, 31, v9
	v_add_lshl_u32 v8, v3, v9, 2
	ds_bpermute_b32 v3, v8, v1
	ds_bpermute_b32 v4, v8, v2
	s_waitcnt lgkmcnt(0)
	v_add_f64 v[1:2], v[1:2], v[3:4]
	v_add_co_ci_u32_e64 v3, null, 0, v9, s2
	v_lshlrev_b32_e32 v9, 2, v3
	ds_bpermute_b32 v3, v9, v1
	ds_bpermute_b32 v4, v9, v2
	v_cmpx_eq_u32_e32 0, v10
	s_cbranch_execz .LBB19_12
; %bb.11:
	s_waitcnt lgkmcnt(0)
	v_add_f64 v[1:2], v[1:2], v[3:4]
	v_lshrrev_b32_e32 v3, 2, v0
	v_and_b32_e32 v3, 0x78, v3
	ds_write_b64 v3, v[1:2]
.LBB19_12:
	s_or_b32 exec_lo, exec_lo, s3
	v_mov_b32_e32 v1, 0
	v_mov_b32_e32 v2, 0
	s_mov_b32 s3, exec_lo
	s_waitcnt lgkmcnt(0)
	s_barrier
	buffer_gl0_inv
	v_cmpx_gt_u32_e32 16, v0
	s_cbranch_execnz .LBB19_16
; %bb.13:
	s_or_b32 exec_lo, exec_lo, s3
	s_and_saveexec_b32 s2, s1
	s_cbranch_execnz .LBB19_17
.LBB19_14:
	s_or_b32 exec_lo, exec_lo, s2
	s_and_saveexec_b32 s1, vcc_lo
	s_cbranch_execnz .LBB19_18
.LBB19_15:
	s_endpgm
.LBB19_16:
	ds_read_b64 v[1:2], v5
	s_or_b32 exec_lo, exec_lo, s3
	s_and_saveexec_b32 s2, s1
	s_cbranch_execz .LBB19_14
.LBB19_17:
	s_waitcnt lgkmcnt(0)
	ds_bpermute_b32 v3, v6, v1
	ds_bpermute_b32 v4, v6, v2
	s_waitcnt lgkmcnt(0)
	v_add_f64 v[0:1], v[1:2], v[3:4]
	ds_bpermute_b32 v2, v7, v0
	ds_bpermute_b32 v3, v7, v1
	s_waitcnt lgkmcnt(0)
	v_add_f64 v[0:1], v[0:1], v[2:3]
	;; [unrolled: 4-line block ×4, first 2 shown]
	s_or_b32 exec_lo, exec_lo, s2
	s_and_saveexec_b32 s1, vcc_lo
	s_cbranch_execz .LBB19_15
.LBB19_18:
	s_load_dwordx4 s[8:11], s[4:5], 0x48
	v_mov_b32_e32 v0, 0
	s_waitcnt lgkmcnt(0)
	s_mul_i32 s1, s11, s0
	s_mul_hi_u32 s2, s10, s0
	s_mul_i32 s0, s10, s0
	s_add_i32 s1, s2, s1
	s_lshl_b64 s[0:1], s[0:1], 3
	s_add_u32 s2, s8, s0
	s_addc_u32 s3, s9, s1
	s_lshl_b64 s[0:1], s[6:7], 3
	s_add_u32 s0, s2, s0
	s_addc_u32 s1, s3, s1
	global_store_dwordx2 v0, v[1:2], s[0:1]
	s_endpgm
	.section	.rodata,"a",@progbits
	.p2align	6, 0x0
	.amdhsa_kernel _ZL20rocblas_trmvt_kernelILi512ELb1ELb0ELb1EPKdPdS2_EviT3_lllT4_lllT5_li
		.amdhsa_group_segment_fixed_size 256
		.amdhsa_private_segment_fixed_size 0
		.amdhsa_kernarg_size 92
		.amdhsa_user_sgpr_count 6
		.amdhsa_user_sgpr_private_segment_buffer 1
		.amdhsa_user_sgpr_dispatch_ptr 0
		.amdhsa_user_sgpr_queue_ptr 0
		.amdhsa_user_sgpr_kernarg_segment_ptr 1
		.amdhsa_user_sgpr_dispatch_id 0
		.amdhsa_user_sgpr_flat_scratch_init 0
		.amdhsa_user_sgpr_private_segment_size 0
		.amdhsa_wavefront_size32 1
		.amdhsa_uses_dynamic_stack 0
		.amdhsa_system_sgpr_private_segment_wavefront_offset 0
		.amdhsa_system_sgpr_workgroup_id_x 1
		.amdhsa_system_sgpr_workgroup_id_y 0
		.amdhsa_system_sgpr_workgroup_id_z 1
		.amdhsa_system_sgpr_workgroup_info 0
		.amdhsa_system_vgpr_workitem_id 0
		.amdhsa_next_free_vgpr 12
		.amdhsa_next_free_sgpr 27
		.amdhsa_reserve_vcc 1
		.amdhsa_reserve_flat_scratch 0
		.amdhsa_float_round_mode_32 0
		.amdhsa_float_round_mode_16_64 0
		.amdhsa_float_denorm_mode_32 3
		.amdhsa_float_denorm_mode_16_64 3
		.amdhsa_dx10_clamp 1
		.amdhsa_ieee_mode 1
		.amdhsa_fp16_overflow 0
		.amdhsa_workgroup_processor_mode 1
		.amdhsa_memory_ordered 1
		.amdhsa_forward_progress 1
		.amdhsa_shared_vgpr_count 0
		.amdhsa_exception_fp_ieee_invalid_op 0
		.amdhsa_exception_fp_denorm_src 0
		.amdhsa_exception_fp_ieee_div_zero 0
		.amdhsa_exception_fp_ieee_overflow 0
		.amdhsa_exception_fp_ieee_underflow 0
		.amdhsa_exception_fp_ieee_inexact 0
		.amdhsa_exception_int_div_zero 0
	.end_amdhsa_kernel
	.section	.text._ZL20rocblas_trmvt_kernelILi512ELb1ELb0ELb1EPKdPdS2_EviT3_lllT4_lllT5_li,"axG",@progbits,_ZL20rocblas_trmvt_kernelILi512ELb1ELb0ELb1EPKdPdS2_EviT3_lllT4_lllT5_li,comdat
.Lfunc_end19:
	.size	_ZL20rocblas_trmvt_kernelILi512ELb1ELb0ELb1EPKdPdS2_EviT3_lllT4_lllT5_li, .Lfunc_end19-_ZL20rocblas_trmvt_kernelILi512ELb1ELb0ELb1EPKdPdS2_EviT3_lllT4_lllT5_li
                                        ; -- End function
	.set _ZL20rocblas_trmvt_kernelILi512ELb1ELb0ELb1EPKdPdS2_EviT3_lllT4_lllT5_li.num_vgpr, 12
	.set _ZL20rocblas_trmvt_kernelILi512ELb1ELb0ELb1EPKdPdS2_EviT3_lllT4_lllT5_li.num_agpr, 0
	.set _ZL20rocblas_trmvt_kernelILi512ELb1ELb0ELb1EPKdPdS2_EviT3_lllT4_lllT5_li.numbered_sgpr, 27
	.set _ZL20rocblas_trmvt_kernelILi512ELb1ELb0ELb1EPKdPdS2_EviT3_lllT4_lllT5_li.num_named_barrier, 0
	.set _ZL20rocblas_trmvt_kernelILi512ELb1ELb0ELb1EPKdPdS2_EviT3_lllT4_lllT5_li.private_seg_size, 0
	.set _ZL20rocblas_trmvt_kernelILi512ELb1ELb0ELb1EPKdPdS2_EviT3_lllT4_lllT5_li.uses_vcc, 1
	.set _ZL20rocblas_trmvt_kernelILi512ELb1ELb0ELb1EPKdPdS2_EviT3_lllT4_lllT5_li.uses_flat_scratch, 0
	.set _ZL20rocblas_trmvt_kernelILi512ELb1ELb0ELb1EPKdPdS2_EviT3_lllT4_lllT5_li.has_dyn_sized_stack, 0
	.set _ZL20rocblas_trmvt_kernelILi512ELb1ELb0ELb1EPKdPdS2_EviT3_lllT4_lllT5_li.has_recursion, 0
	.set _ZL20rocblas_trmvt_kernelILi512ELb1ELb0ELb1EPKdPdS2_EviT3_lllT4_lllT5_li.has_indirect_call, 0
	.section	.AMDGPU.csdata,"",@progbits
; Kernel info:
; codeLenInByte = 1132
; TotalNumSgprs: 29
; NumVgprs: 12
; ScratchSize: 0
; MemoryBound: 1
; FloatMode: 240
; IeeeMode: 1
; LDSByteSize: 256 bytes/workgroup (compile time only)
; SGPRBlocks: 0
; VGPRBlocks: 1
; NumSGPRsForWavesPerEU: 29
; NumVGPRsForWavesPerEU: 12
; Occupancy: 16
; WaveLimiterHint : 0
; COMPUTE_PGM_RSRC2:SCRATCH_EN: 0
; COMPUTE_PGM_RSRC2:USER_SGPR: 6
; COMPUTE_PGM_RSRC2:TRAP_HANDLER: 0
; COMPUTE_PGM_RSRC2:TGID_X_EN: 1
; COMPUTE_PGM_RSRC2:TGID_Y_EN: 0
; COMPUTE_PGM_RSRC2:TGID_Z_EN: 1
; COMPUTE_PGM_RSRC2:TIDIG_COMP_CNT: 0
	.section	.text._ZL20rocblas_trmvt_kernelILi512ELb1ELb1ELb1EPKdPdS2_EviT3_lllT4_lllT5_li,"axG",@progbits,_ZL20rocblas_trmvt_kernelILi512ELb1ELb1ELb1EPKdPdS2_EviT3_lllT4_lllT5_li,comdat
	.globl	_ZL20rocblas_trmvt_kernelILi512ELb1ELb1ELb1EPKdPdS2_EviT3_lllT4_lllT5_li ; -- Begin function _ZL20rocblas_trmvt_kernelILi512ELb1ELb1ELb1EPKdPdS2_EviT3_lllT4_lllT5_li
	.p2align	8
	.type	_ZL20rocblas_trmvt_kernelILi512ELb1ELb1ELb1EPKdPdS2_EviT3_lllT4_lllT5_li,@function
_ZL20rocblas_trmvt_kernelILi512ELb1ELb1ELb1EPKdPdS2_EviT3_lllT4_lllT5_li: ; @_ZL20rocblas_trmvt_kernelILi512ELb1ELb1ELb1EPKdPdS2_EviT3_lllT4_lllT5_li
; %bb.0:
	s_load_dwordx16 s[8:23], s[4:5], 0x8
	v_mov_b32_e32 v1, 0
	v_mov_b32_e32 v2, 0
	v_cmp_eq_u32_e32 vcc_lo, 0, v0
	s_mov_b32 s0, s7
	s_waitcnt lgkmcnt(0)
	s_mul_i32 s1, s23, s7
	s_mul_hi_u32 s3, s22, s7
	s_mul_i32 s2, s22, s7
	s_add_i32 s3, s3, s1
	s_ashr_i32 s7, s6, 31
	s_and_saveexec_b32 s1, vcc_lo
	s_cbranch_execz .LBB20_2
; %bb.1:
	s_lshl_b64 s[22:23], s[2:3], 3
	s_mul_i32 s26, s20, s7
	s_add_u32 s24, s16, s22
	s_addc_u32 s25, s17, s23
	s_lshl_b64 s[22:23], s[18:19], 3
	s_add_u32 s24, s24, s22
	s_mul_hi_u32 s22, s20, s6
	s_addc_u32 s25, s25, s23
	s_add_i32 s22, s22, s26
	s_mul_i32 s23, s21, s6
	s_add_i32 s23, s22, s23
	s_mul_i32 s22, s20, s6
	s_lshl_b64 s[22:23], s[22:23], 3
	s_add_u32 s22, s24, s22
	s_addc_u32 s23, s25, s23
	s_load_dwordx2 s[22:23], s[22:23], 0x0
	s_waitcnt lgkmcnt(0)
	v_add_f64 v[1:2], s[22:23], 0
.LBB20_2:
	s_or_b32 exec_lo, exec_lo, s1
	s_load_dword s23, s[4:5], 0x0
	s_waitcnt lgkmcnt(0)
	v_cmp_gt_i32_e64 s1, s23, v0
	s_and_saveexec_b32 s22, s1
	s_cbranch_execz .LBB20_8
; %bb.3:
	v_mad_u64_u32 v[5:6], null, s20, v0, 0
	s_mul_i32 s15, s15, s0
	s_mul_hi_u32 s24, s14, s0
	s_mul_i32 s14, s14, s0
	s_add_i32 s15, s24, s15
	v_cndmask_b32_e64 v4, 0, v0, s1
	s_lshl_b64 s[14:15], s[14:15], 3
	v_mov_b32_e32 v3, v6
	s_add_u32 s14, s8, s14
	s_addc_u32 s15, s9, s15
	s_lshl_b64 s[8:9], s[10:11], 3
	v_lshlrev_b32_e32 v6, 3, v4
	v_mad_u64_u32 v[3:4], null, s21, v0, v[3:4]
	s_add_u32 s10, s14, s8
	s_addc_u32 s1, s15, s9
	s_mul_i32 s8, s12, s7
	s_mul_hi_u32 s9, s12, s6
	v_add_co_u32 v4, s10, s10, v6
	s_add_i32 s8, s9, s8
	s_mul_i32 s9, s13, s6
	v_add_co_ci_u32_e64 v7, null, s1, 0, s10
	s_add_i32 s9, s8, s9
	s_mul_i32 s8, s12, s6
	v_mov_b32_e32 v6, v3
	s_lshl_b64 s[8:9], s[8:9], 3
	s_lshl_b64 s[2:3], s[2:3], 3
	v_add_co_u32 v3, s1, v4, s8
	v_add_co_ci_u32_e64 v4, null, s9, v7, s1
	s_lshl_b64 s[8:9], s[18:19], 3
	v_lshlrev_b64 v[5:6], 3, v[5:6]
	s_add_u32 s1, s16, s8
	s_addc_u32 s8, s17, s9
	s_add_u32 s1, s1, s2
	s_addc_u32 s2, s8, s3
	v_mov_b32_e32 v7, v0
	v_add_co_u32 v5, s1, s1, v5
	v_add_co_ci_u32_e64 v6, null, s2, v6, s1
	s_mov_b32 s3, 0
	s_lshl_b64 s[8:9], s[20:21], 12
	s_inst_prefetch 0x1
	s_branch .LBB20_5
	.p2align	6
.LBB20_4:                               ;   in Loop: Header=BB20_5 Depth=1
	s_or_b32 exec_lo, exec_lo, s2
	v_add_nc_u32_e32 v7, 0x200, v7
	v_add_co_u32 v3, s1, 0x1000, v3
	v_add_co_ci_u32_e64 v4, null, 0, v4, s1
	v_cmp_le_i32_e64 s1, s23, v7
	v_add_co_u32 v5, s2, v5, s8
	v_add_co_ci_u32_e64 v6, null, s9, v6, s2
	s_or_b32 s3, s1, s3
	s_andn2_b32 exec_lo, exec_lo, s3
	s_cbranch_execz .LBB20_7
.LBB20_5:                               ; =>This Inner Loop Header: Depth=1
	s_mov_b32 s2, exec_lo
	v_cmpx_lt_i32_e64 s6, v7
	s_cbranch_execz .LBB20_4
; %bb.6:                                ;   in Loop: Header=BB20_5 Depth=1
	global_load_dwordx2 v[8:9], v[3:4], off
	global_load_dwordx2 v[10:11], v[5:6], off
	s_waitcnt vmcnt(0)
	v_fma_f64 v[1:2], v[8:9], v[10:11], v[1:2]
	s_branch .LBB20_4
.LBB20_7:
	s_inst_prefetch 0x2
	s_or_b32 exec_lo, exec_lo, s3
.LBB20_8:
	s_or_b32 exec_lo, exec_lo, s22
	v_and_b32_e32 v10, 31, v0
	v_cmp_gt_u32_e64 s1, 32, v0
	v_lshlrev_b32_e32 v5, 3, v10
	s_and_saveexec_b32 s2, s1
; %bb.9:
	v_mov_b32_e32 v3, 0
	v_mov_b32_e32 v4, v3
	ds_write_b64 v5, v[3:4]
; %bb.10:
	s_or_b32 exec_lo, exec_lo, s2
	v_mbcnt_lo_u32_b32 v9, -1, 0
	s_mov_b32 s3, exec_lo
	s_waitcnt lgkmcnt(0)
	s_barrier
	buffer_gl0_inv
	v_lshl_or_b32 v4, v9, 2, 64
	v_cmp_gt_u32_e64 s2, 24, v9
	ds_bpermute_b32 v3, v4, v1
	ds_bpermute_b32 v4, v4, v2
	s_waitcnt lgkmcnt(0)
	v_add_f64 v[1:2], v[1:2], v[3:4]
	v_cndmask_b32_e64 v3, 0, 8, s2
	v_cmp_gt_u32_e64 s2, 28, v9
	v_add_lshl_u32 v6, v3, v9, 2
	ds_bpermute_b32 v3, v6, v1
	ds_bpermute_b32 v4, v6, v2
	s_waitcnt lgkmcnt(0)
	v_add_f64 v[1:2], v[1:2], v[3:4]
	v_cndmask_b32_e64 v3, 0, 4, s2
	v_cmp_gt_u32_e64 s2, 30, v9
	v_add_lshl_u32 v7, v3, v9, 2
	ds_bpermute_b32 v3, v7, v1
	ds_bpermute_b32 v4, v7, v2
	s_waitcnt lgkmcnt(0)
	v_add_f64 v[1:2], v[1:2], v[3:4]
	v_cndmask_b32_e64 v3, 0, 2, s2
	v_cmp_ne_u32_e64 s2, 31, v9
	v_add_lshl_u32 v8, v3, v9, 2
	ds_bpermute_b32 v3, v8, v1
	ds_bpermute_b32 v4, v8, v2
	s_waitcnt lgkmcnt(0)
	v_add_f64 v[1:2], v[1:2], v[3:4]
	v_add_co_ci_u32_e64 v3, null, 0, v9, s2
	v_lshlrev_b32_e32 v9, 2, v3
	ds_bpermute_b32 v3, v9, v1
	ds_bpermute_b32 v4, v9, v2
	v_cmpx_eq_u32_e32 0, v10
	s_cbranch_execz .LBB20_12
; %bb.11:
	s_waitcnt lgkmcnt(0)
	v_add_f64 v[1:2], v[1:2], v[3:4]
	v_lshrrev_b32_e32 v3, 2, v0
	v_and_b32_e32 v3, 0x78, v3
	ds_write_b64 v3, v[1:2]
.LBB20_12:
	s_or_b32 exec_lo, exec_lo, s3
	v_mov_b32_e32 v1, 0
	v_mov_b32_e32 v2, 0
	s_mov_b32 s3, exec_lo
	s_waitcnt lgkmcnt(0)
	s_barrier
	buffer_gl0_inv
	v_cmpx_gt_u32_e32 16, v0
	s_cbranch_execnz .LBB20_16
; %bb.13:
	s_or_b32 exec_lo, exec_lo, s3
	s_and_saveexec_b32 s2, s1
	s_cbranch_execnz .LBB20_17
.LBB20_14:
	s_or_b32 exec_lo, exec_lo, s2
	s_and_saveexec_b32 s1, vcc_lo
	s_cbranch_execnz .LBB20_18
.LBB20_15:
	s_endpgm
.LBB20_16:
	ds_read_b64 v[1:2], v5
	s_or_b32 exec_lo, exec_lo, s3
	s_and_saveexec_b32 s2, s1
	s_cbranch_execz .LBB20_14
.LBB20_17:
	s_waitcnt lgkmcnt(0)
	ds_bpermute_b32 v3, v6, v1
	ds_bpermute_b32 v4, v6, v2
	s_waitcnt lgkmcnt(0)
	v_add_f64 v[0:1], v[1:2], v[3:4]
	ds_bpermute_b32 v2, v7, v0
	ds_bpermute_b32 v3, v7, v1
	s_waitcnt lgkmcnt(0)
	v_add_f64 v[0:1], v[0:1], v[2:3]
	;; [unrolled: 4-line block ×4, first 2 shown]
	s_or_b32 exec_lo, exec_lo, s2
	s_and_saveexec_b32 s1, vcc_lo
	s_cbranch_execz .LBB20_15
.LBB20_18:
	s_load_dwordx4 s[8:11], s[4:5], 0x48
	v_mov_b32_e32 v0, 0
	s_waitcnt lgkmcnt(0)
	s_mul_i32 s1, s11, s0
	s_mul_hi_u32 s2, s10, s0
	s_mul_i32 s0, s10, s0
	s_add_i32 s1, s2, s1
	s_lshl_b64 s[0:1], s[0:1], 3
	s_add_u32 s2, s8, s0
	s_addc_u32 s3, s9, s1
	s_lshl_b64 s[0:1], s[6:7], 3
	s_add_u32 s0, s2, s0
	s_addc_u32 s1, s3, s1
	global_store_dwordx2 v0, v[1:2], s[0:1]
	s_endpgm
	.section	.rodata,"a",@progbits
	.p2align	6, 0x0
	.amdhsa_kernel _ZL20rocblas_trmvt_kernelILi512ELb1ELb1ELb1EPKdPdS2_EviT3_lllT4_lllT5_li
		.amdhsa_group_segment_fixed_size 256
		.amdhsa_private_segment_fixed_size 0
		.amdhsa_kernarg_size 92
		.amdhsa_user_sgpr_count 6
		.amdhsa_user_sgpr_private_segment_buffer 1
		.amdhsa_user_sgpr_dispatch_ptr 0
		.amdhsa_user_sgpr_queue_ptr 0
		.amdhsa_user_sgpr_kernarg_segment_ptr 1
		.amdhsa_user_sgpr_dispatch_id 0
		.amdhsa_user_sgpr_flat_scratch_init 0
		.amdhsa_user_sgpr_private_segment_size 0
		.amdhsa_wavefront_size32 1
		.amdhsa_uses_dynamic_stack 0
		.amdhsa_system_sgpr_private_segment_wavefront_offset 0
		.amdhsa_system_sgpr_workgroup_id_x 1
		.amdhsa_system_sgpr_workgroup_id_y 0
		.amdhsa_system_sgpr_workgroup_id_z 1
		.amdhsa_system_sgpr_workgroup_info 0
		.amdhsa_system_vgpr_workitem_id 0
		.amdhsa_next_free_vgpr 12
		.amdhsa_next_free_sgpr 27
		.amdhsa_reserve_vcc 1
		.amdhsa_reserve_flat_scratch 0
		.amdhsa_float_round_mode_32 0
		.amdhsa_float_round_mode_16_64 0
		.amdhsa_float_denorm_mode_32 3
		.amdhsa_float_denorm_mode_16_64 3
		.amdhsa_dx10_clamp 1
		.amdhsa_ieee_mode 1
		.amdhsa_fp16_overflow 0
		.amdhsa_workgroup_processor_mode 1
		.amdhsa_memory_ordered 1
		.amdhsa_forward_progress 1
		.amdhsa_shared_vgpr_count 0
		.amdhsa_exception_fp_ieee_invalid_op 0
		.amdhsa_exception_fp_denorm_src 0
		.amdhsa_exception_fp_ieee_div_zero 0
		.amdhsa_exception_fp_ieee_overflow 0
		.amdhsa_exception_fp_ieee_underflow 0
		.amdhsa_exception_fp_ieee_inexact 0
		.amdhsa_exception_int_div_zero 0
	.end_amdhsa_kernel
	.section	.text._ZL20rocblas_trmvt_kernelILi512ELb1ELb1ELb1EPKdPdS2_EviT3_lllT4_lllT5_li,"axG",@progbits,_ZL20rocblas_trmvt_kernelILi512ELb1ELb1ELb1EPKdPdS2_EviT3_lllT4_lllT5_li,comdat
.Lfunc_end20:
	.size	_ZL20rocblas_trmvt_kernelILi512ELb1ELb1ELb1EPKdPdS2_EviT3_lllT4_lllT5_li, .Lfunc_end20-_ZL20rocblas_trmvt_kernelILi512ELb1ELb1ELb1EPKdPdS2_EviT3_lllT4_lllT5_li
                                        ; -- End function
	.set _ZL20rocblas_trmvt_kernelILi512ELb1ELb1ELb1EPKdPdS2_EviT3_lllT4_lllT5_li.num_vgpr, 12
	.set _ZL20rocblas_trmvt_kernelILi512ELb1ELb1ELb1EPKdPdS2_EviT3_lllT4_lllT5_li.num_agpr, 0
	.set _ZL20rocblas_trmvt_kernelILi512ELb1ELb1ELb1EPKdPdS2_EviT3_lllT4_lllT5_li.numbered_sgpr, 27
	.set _ZL20rocblas_trmvt_kernelILi512ELb1ELb1ELb1EPKdPdS2_EviT3_lllT4_lllT5_li.num_named_barrier, 0
	.set _ZL20rocblas_trmvt_kernelILi512ELb1ELb1ELb1EPKdPdS2_EviT3_lllT4_lllT5_li.private_seg_size, 0
	.set _ZL20rocblas_trmvt_kernelILi512ELb1ELb1ELb1EPKdPdS2_EviT3_lllT4_lllT5_li.uses_vcc, 1
	.set _ZL20rocblas_trmvt_kernelILi512ELb1ELb1ELb1EPKdPdS2_EviT3_lllT4_lllT5_li.uses_flat_scratch, 0
	.set _ZL20rocblas_trmvt_kernelILi512ELb1ELb1ELb1EPKdPdS2_EviT3_lllT4_lllT5_li.has_dyn_sized_stack, 0
	.set _ZL20rocblas_trmvt_kernelILi512ELb1ELb1ELb1EPKdPdS2_EviT3_lllT4_lllT5_li.has_recursion, 0
	.set _ZL20rocblas_trmvt_kernelILi512ELb1ELb1ELb1EPKdPdS2_EviT3_lllT4_lllT5_li.has_indirect_call, 0
	.section	.AMDGPU.csdata,"",@progbits
; Kernel info:
; codeLenInByte = 1132
; TotalNumSgprs: 29
; NumVgprs: 12
; ScratchSize: 0
; MemoryBound: 1
; FloatMode: 240
; IeeeMode: 1
; LDSByteSize: 256 bytes/workgroup (compile time only)
; SGPRBlocks: 0
; VGPRBlocks: 1
; NumSGPRsForWavesPerEU: 29
; NumVGPRsForWavesPerEU: 12
; Occupancy: 16
; WaveLimiterHint : 0
; COMPUTE_PGM_RSRC2:SCRATCH_EN: 0
; COMPUTE_PGM_RSRC2:USER_SGPR: 6
; COMPUTE_PGM_RSRC2:TRAP_HANDLER: 0
; COMPUTE_PGM_RSRC2:TGID_X_EN: 1
; COMPUTE_PGM_RSRC2:TGID_Y_EN: 0
; COMPUTE_PGM_RSRC2:TGID_Z_EN: 1
; COMPUTE_PGM_RSRC2:TIDIG_COMP_CNT: 0
	.section	.text._ZL20rocblas_trmvn_kernelILi64ELi16ELb1ELb0EPKdPdS2_EviT3_lllT4_lllT5_li,"axG",@progbits,_ZL20rocblas_trmvn_kernelILi64ELi16ELb1ELb0EPKdPdS2_EviT3_lllT4_lllT5_li,comdat
	.globl	_ZL20rocblas_trmvn_kernelILi64ELi16ELb1ELb0EPKdPdS2_EviT3_lllT4_lllT5_li ; -- Begin function _ZL20rocblas_trmvn_kernelILi64ELi16ELb1ELb0EPKdPdS2_EviT3_lllT4_lllT5_li
	.p2align	8
	.type	_ZL20rocblas_trmvn_kernelILi64ELi16ELb1ELb0EPKdPdS2_EviT3_lllT4_lllT5_li,@function
_ZL20rocblas_trmvn_kernelILi64ELi16ELb1ELb0EPKdPdS2_EviT3_lllT4_lllT5_li: ; @_ZL20rocblas_trmvn_kernelILi64ELi16ELb1ELb0EPKdPdS2_EviT3_lllT4_lllT5_li
; %bb.0:
	s_clause 0x1
	s_load_dwordx16 s[8:23], s[4:5], 0x8
	s_load_dword s24, s[4:5], 0x0
	v_lshl_add_u32 v2, s6, 6, v0
	v_cmp_eq_u32_e64 s0, 0, v1
	v_mov_b32_e32 v4, 0
	v_mov_b32_e32 v5, 0
	s_waitcnt lgkmcnt(0)
	s_mul_i32 s1, s15, s7
	v_cmp_gt_i32_e32 vcc_lo, s24, v2
	s_mul_hi_u32 s2, s14, s7
	s_mul_i32 s6, s23, s7
	s_mul_hi_u32 s15, s22, s7
	s_add_i32 s3, s2, s1
	s_mul_i32 s2, s14, s7
	s_add_i32 s15, s15, s6
	s_mul_i32 s14, s22, s7
	s_and_b32 s0, s0, vcc_lo
	s_and_saveexec_b32 s1, s0
	s_cbranch_execz .LBB21_2
; %bb.1:
	v_ashrrev_i32_e32 v3, 31, v2
	v_mul_lo_u32 v8, v2, s13
	v_mul_lo_u32 v10, s21, v2
	v_mad_u64_u32 v[6:7], null, s20, v2, 0
	v_mul_lo_u32 v9, v3, s12
	v_mad_u64_u32 v[4:5], null, v2, s12, v[2:3]
	v_mul_lo_u32 v3, s20, v3
	s_lshl_b64 s[22:23], s[2:3], 3
	s_add_u32 s0, s8, s22
	s_addc_u32 s6, s9, s23
	s_lshl_b64 s[22:23], s[10:11], 3
	v_add3_u32 v5, v9, v5, v8
	s_add_u32 s0, s0, s22
	v_add3_u32 v7, v7, v3, v10
	s_addc_u32 s6, s6, s23
	s_lshl_b64 s[22:23], s[14:15], 3
	v_lshlrev_b64 v[3:4], 3, v[4:5]
	s_add_u32 s25, s16, s22
	v_lshlrev_b64 v[5:6], 3, v[6:7]
	s_addc_u32 s26, s17, s23
	s_lshl_b64 s[22:23], s[18:19], 3
	s_add_u32 s22, s25, s22
	v_add_co_u32 v3, s0, s0, v3
	s_addc_u32 s23, s26, s23
	v_add_co_ci_u32_e64 v4, null, s6, v4, s0
	v_add_co_u32 v5, s0, s22, v5
	v_add_co_ci_u32_e64 v6, null, s23, v6, s0
	global_load_dwordx2 v[3:4], v[3:4], off
	global_load_dwordx2 v[5:6], v[5:6], off
	s_waitcnt vmcnt(0)
	v_mul_f64 v[4:5], v[3:4], v[5:6]
.LBB21_2:
	s_or_b32 exec_lo, exec_lo, s1
	s_load_dword s6, s[4:5], 0x6c
	s_mov_b32 s22, exec_lo
	v_cmpx_gt_i32_e64 s24, v1
	s_cbranch_execz .LBB21_8
; %bb.3:
	v_mad_u64_u32 v[6:7], null, s12, v1, 0
	v_mad_u64_u32 v[8:9], null, s20, v1, 0
	s_lshl_b64 s[0:1], s[18:19], 3
	s_lshl_b64 s[14:15], s[14:15], 3
	s_add_u32 s0, s16, s0
	v_ashrrev_i32_e32 v3, 31, v2
	s_addc_u32 s1, s17, s1
	s_add_u32 s16, s0, s14
	v_mad_u64_u32 v[10:11], null, s13, v1, v[7:8]
	s_addc_u32 s17, s1, s15
	s_lshl_b64 s[0:1], s[2:3], 3
	s_lshl_b64 s[2:3], s[10:11], 3
	;; [unrolled: 1-line block ×3, first 2 shown]
	s_add_u32 s0, s2, s0
	s_addc_u32 s1, s3, s1
	v_mov_b32_e32 v7, v10
	v_mad_u64_u32 v[9:10], null, s21, v1, v[9:10]
	v_lshlrev_b64 v[10:11], 3, v[2:3]
	s_lshl_b64 s[2:3], s[12:13], 7
	v_lshlrev_b64 v[6:7], 3, v[6:7]
	v_add_co_u32 v3, s0, s0, v6
	v_add_co_ci_u32_e64 v12, null, s1, v7, s0
	v_lshlrev_b64 v[6:7], 3, v[8:9]
	v_add_co_u32 v3, s0, v3, v10
	v_add_co_ci_u32_e64 v9, null, v12, v11, s0
	v_add_co_u32 v6, s0, s16, v6
	v_add_co_ci_u32_e64 v7, null, s17, v7, s0
	;; [unrolled: 2-line block ×3, first 2 shown]
	v_mov_b32_e32 v3, v1
	s_mov_b32 s8, 0
	s_inst_prefetch 0x1
	s_branch .LBB21_5
	.p2align	6
.LBB21_4:                               ;   in Loop: Header=BB21_5 Depth=1
	s_or_b32 exec_lo, exec_lo, s0
	v_add_nc_u32_e32 v3, 16, v3
	v_add_co_u32 v6, s0, v6, s14
	v_add_co_ci_u32_e64 v7, null, s15, v7, s0
	v_cmp_le_i32_e64 s0, s24, v3
	v_add_co_u32 v8, s1, v8, s2
	v_add_co_ci_u32_e64 v9, null, s3, v9, s1
	s_or_b32 s8, s0, s8
	s_andn2_b32 exec_lo, exec_lo, s8
	s_cbranch_execz .LBB21_7
.LBB21_5:                               ; =>This Inner Loop Header: Depth=1
	v_cmp_lt_i32_e64 s0, v3, v2
	s_and_b32 s1, vcc_lo, s0
	s_and_saveexec_b32 s0, s1
	s_cbranch_execz .LBB21_4
; %bb.6:                                ;   in Loop: Header=BB21_5 Depth=1
	global_load_dwordx2 v[10:11], v[8:9], off
	global_load_dwordx2 v[12:13], v[6:7], off
	s_waitcnt vmcnt(0)
	v_fma_f64 v[4:5], v[10:11], v[12:13], v[4:5]
	s_branch .LBB21_4
.LBB21_7:
	s_inst_prefetch 0x2
	s_or_b32 exec_lo, exec_lo, s8
.LBB21_8:
	s_or_b32 exec_lo, exec_lo, s22
	v_lshlrev_b32_e32 v3, 3, v0
	s_waitcnt lgkmcnt(0)
	s_and_b32 s1, 0xffff, s6
	s_mov_b32 s2, exec_lo
	v_mad_u32_u24 v0, v1, s1, v0
	v_lshl_add_u32 v6, v1, 9, v3
	ds_write_b64 v6, v[4:5]
	s_waitcnt lgkmcnt(0)
	s_barrier
	buffer_gl0_inv
	v_cmpx_gt_u32_e32 64, v0
	s_cbranch_execz .LBB21_11
; %bb.9:
	v_mul_u32_u24_e32 v0, s1, v1
	v_lshl_add_u32 v11, v0, 3, v3
	ds_read2st64_b64 v[3:6], v11 offset1:1
	ds_read2st64_b64 v[7:10], v11 offset0:2 offset1:3
	s_waitcnt lgkmcnt(1)
	v_add_f64 v[0:1], v[3:4], v[5:6]
	s_waitcnt lgkmcnt(0)
	v_add_f64 v[0:1], v[7:8], v[0:1]
	v_add_f64 v[0:1], v[9:10], v[0:1]
	ds_read2st64_b64 v[3:6], v11 offset0:4 offset1:5
	ds_read2st64_b64 v[7:10], v11 offset0:6 offset1:7
	s_waitcnt lgkmcnt(1)
	v_add_f64 v[0:1], v[3:4], v[0:1]
	v_add_f64 v[0:1], v[5:6], v[0:1]
	s_waitcnt lgkmcnt(0)
	v_add_f64 v[0:1], v[7:8], v[0:1]
	v_add_f64 v[0:1], v[9:10], v[0:1]
	ds_read2st64_b64 v[3:6], v11 offset0:8 offset1:9
	ds_read2st64_b64 v[7:10], v11 offset0:10 offset1:11
	s_waitcnt lgkmcnt(1)
	v_add_f64 v[0:1], v[3:4], v[0:1]
	;; [unrolled: 8-line block ×3, first 2 shown]
	v_add_f64 v[0:1], v[5:6], v[0:1]
	s_waitcnt lgkmcnt(0)
	v_add_f64 v[0:1], v[7:8], v[0:1]
	v_add_f64 v[0:1], v[9:10], v[0:1]
	ds_write_b64 v11, v[0:1]
	s_and_b32 exec_lo, exec_lo, vcc_lo
	s_cbranch_execz .LBB21_11
; %bb.10:
	s_load_dwordx4 s[0:3], s[4:5], 0x48
	v_ashrrev_i32_e32 v3, 31, v2
	v_lshlrev_b64 v[2:3], 3, v[2:3]
	s_waitcnt lgkmcnt(0)
	s_mul_i32 s3, s3, s7
	s_mul_hi_u32 s4, s2, s7
	s_mul_i32 s2, s2, s7
	s_add_i32 s3, s4, s3
	s_lshl_b64 s[2:3], s[2:3], 3
	s_add_u32 s0, s0, s2
	s_addc_u32 s1, s1, s3
	v_add_co_u32 v2, vcc_lo, s0, v2
	v_add_co_ci_u32_e64 v3, null, s1, v3, vcc_lo
	global_store_dwordx2 v[2:3], v[0:1], off
.LBB21_11:
	s_endpgm
	.section	.rodata,"a",@progbits
	.p2align	6, 0x0
	.amdhsa_kernel _ZL20rocblas_trmvn_kernelILi64ELi16ELb1ELb0EPKdPdS2_EviT3_lllT4_lllT5_li
		.amdhsa_group_segment_fixed_size 8192
		.amdhsa_private_segment_fixed_size 0
		.amdhsa_kernarg_size 352
		.amdhsa_user_sgpr_count 6
		.amdhsa_user_sgpr_private_segment_buffer 1
		.amdhsa_user_sgpr_dispatch_ptr 0
		.amdhsa_user_sgpr_queue_ptr 0
		.amdhsa_user_sgpr_kernarg_segment_ptr 1
		.amdhsa_user_sgpr_dispatch_id 0
		.amdhsa_user_sgpr_flat_scratch_init 0
		.amdhsa_user_sgpr_private_segment_size 0
		.amdhsa_wavefront_size32 1
		.amdhsa_uses_dynamic_stack 0
		.amdhsa_system_sgpr_private_segment_wavefront_offset 0
		.amdhsa_system_sgpr_workgroup_id_x 1
		.amdhsa_system_sgpr_workgroup_id_y 0
		.amdhsa_system_sgpr_workgroup_id_z 1
		.amdhsa_system_sgpr_workgroup_info 0
		.amdhsa_system_vgpr_workitem_id 1
		.amdhsa_next_free_vgpr 14
		.amdhsa_next_free_sgpr 27
		.amdhsa_reserve_vcc 1
		.amdhsa_reserve_flat_scratch 0
		.amdhsa_float_round_mode_32 0
		.amdhsa_float_round_mode_16_64 0
		.amdhsa_float_denorm_mode_32 3
		.amdhsa_float_denorm_mode_16_64 3
		.amdhsa_dx10_clamp 1
		.amdhsa_ieee_mode 1
		.amdhsa_fp16_overflow 0
		.amdhsa_workgroup_processor_mode 1
		.amdhsa_memory_ordered 1
		.amdhsa_forward_progress 1
		.amdhsa_shared_vgpr_count 0
		.amdhsa_exception_fp_ieee_invalid_op 0
		.amdhsa_exception_fp_denorm_src 0
		.amdhsa_exception_fp_ieee_div_zero 0
		.amdhsa_exception_fp_ieee_overflow 0
		.amdhsa_exception_fp_ieee_underflow 0
		.amdhsa_exception_fp_ieee_inexact 0
		.amdhsa_exception_int_div_zero 0
	.end_amdhsa_kernel
	.section	.text._ZL20rocblas_trmvn_kernelILi64ELi16ELb1ELb0EPKdPdS2_EviT3_lllT4_lllT5_li,"axG",@progbits,_ZL20rocblas_trmvn_kernelILi64ELi16ELb1ELb0EPKdPdS2_EviT3_lllT4_lllT5_li,comdat
.Lfunc_end21:
	.size	_ZL20rocblas_trmvn_kernelILi64ELi16ELb1ELb0EPKdPdS2_EviT3_lllT4_lllT5_li, .Lfunc_end21-_ZL20rocblas_trmvn_kernelILi64ELi16ELb1ELb0EPKdPdS2_EviT3_lllT4_lllT5_li
                                        ; -- End function
	.set _ZL20rocblas_trmvn_kernelILi64ELi16ELb1ELb0EPKdPdS2_EviT3_lllT4_lllT5_li.num_vgpr, 14
	.set _ZL20rocblas_trmvn_kernelILi64ELi16ELb1ELb0EPKdPdS2_EviT3_lllT4_lllT5_li.num_agpr, 0
	.set _ZL20rocblas_trmvn_kernelILi64ELi16ELb1ELb0EPKdPdS2_EviT3_lllT4_lllT5_li.numbered_sgpr, 27
	.set _ZL20rocblas_trmvn_kernelILi64ELi16ELb1ELb0EPKdPdS2_EviT3_lllT4_lllT5_li.num_named_barrier, 0
	.set _ZL20rocblas_trmvn_kernelILi64ELi16ELb1ELb0EPKdPdS2_EviT3_lllT4_lllT5_li.private_seg_size, 0
	.set _ZL20rocblas_trmvn_kernelILi64ELi16ELb1ELb0EPKdPdS2_EviT3_lllT4_lllT5_li.uses_vcc, 1
	.set _ZL20rocblas_trmvn_kernelILi64ELi16ELb1ELb0EPKdPdS2_EviT3_lllT4_lllT5_li.uses_flat_scratch, 0
	.set _ZL20rocblas_trmvn_kernelILi64ELi16ELb1ELb0EPKdPdS2_EviT3_lllT4_lllT5_li.has_dyn_sized_stack, 0
	.set _ZL20rocblas_trmvn_kernelILi64ELi16ELb1ELb0EPKdPdS2_EviT3_lllT4_lllT5_li.has_recursion, 0
	.set _ZL20rocblas_trmvn_kernelILi64ELi16ELb1ELb0EPKdPdS2_EviT3_lllT4_lllT5_li.has_indirect_call, 0
	.section	.AMDGPU.csdata,"",@progbits
; Kernel info:
; codeLenInByte = 1028
; TotalNumSgprs: 29
; NumVgprs: 14
; ScratchSize: 0
; MemoryBound: 1
; FloatMode: 240
; IeeeMode: 1
; LDSByteSize: 8192 bytes/workgroup (compile time only)
; SGPRBlocks: 0
; VGPRBlocks: 1
; NumSGPRsForWavesPerEU: 29
; NumVGPRsForWavesPerEU: 14
; Occupancy: 16
; WaveLimiterHint : 0
; COMPUTE_PGM_RSRC2:SCRATCH_EN: 0
; COMPUTE_PGM_RSRC2:USER_SGPR: 6
; COMPUTE_PGM_RSRC2:TRAP_HANDLER: 0
; COMPUTE_PGM_RSRC2:TGID_X_EN: 1
; COMPUTE_PGM_RSRC2:TGID_Y_EN: 0
; COMPUTE_PGM_RSRC2:TGID_Z_EN: 1
; COMPUTE_PGM_RSRC2:TIDIG_COMP_CNT: 1
	.section	.text._ZL20rocblas_trmvt_kernelILi512ELb1ELb0ELb0EPKdPdS2_EviT3_lllT4_lllT5_li,"axG",@progbits,_ZL20rocblas_trmvt_kernelILi512ELb1ELb0ELb0EPKdPdS2_EviT3_lllT4_lllT5_li,comdat
	.globl	_ZL20rocblas_trmvt_kernelILi512ELb1ELb0ELb0EPKdPdS2_EviT3_lllT4_lllT5_li ; -- Begin function _ZL20rocblas_trmvt_kernelILi512ELb1ELb0ELb0EPKdPdS2_EviT3_lllT4_lllT5_li
	.p2align	8
	.type	_ZL20rocblas_trmvt_kernelILi512ELb1ELb0ELb0EPKdPdS2_EviT3_lllT4_lllT5_li,@function
_ZL20rocblas_trmvt_kernelILi512ELb1ELb0ELb0EPKdPdS2_EviT3_lllT4_lllT5_li: ; @_ZL20rocblas_trmvt_kernelILi512ELb1ELb0ELb0EPKdPdS2_EviT3_lllT4_lllT5_li
; %bb.0:
	s_clause 0x1
	s_load_dwordx16 s[8:23], s[4:5], 0x8
	s_load_dword s3, s[4:5], 0x0
	s_mov_b32 s0, s7
	v_mov_b32_e32 v1, 0
	v_mov_b32_e32 v2, 0
	s_waitcnt lgkmcnt(0)
	s_mul_i32 s1, s15, s7
	s_mul_hi_u32 s2, s14, s7
	s_mul_i32 s14, s14, s7
	s_add_i32 s15, s2, s1
	v_cmp_gt_i32_e64 s1, s3, v0
	s_lshl_b64 s[14:15], s[14:15], 3
	s_mul_i32 s23, s23, s7
	s_mul_hi_u32 s2, s22, s7
	s_add_u32 s7, s8, s14
	v_cndmask_b32_e64 v3, 0, v0, s1
	s_addc_u32 s14, s9, s15
	s_lshl_b64 s[8:9], s[10:11], 3
	s_mul_hi_u32 s10, s12, s6
	s_add_u32 s11, s7, s8
	s_addc_u32 s14, s14, s9
	s_ashr_i32 s7, s6, 31
	v_lshlrev_b32_e32 v3, 3, v3
	s_mul_i32 s8, s12, s7
	s_mul_i32 s9, s13, s6
	s_add_i32 s10, s10, s8
	s_mul_i32 s8, s12, s6
	s_add_i32 s9, s10, s9
	v_add_co_u32 v3, s10, s11, v3
	v_add_co_ci_u32_e64 v4, null, s14, 0, s10
	s_lshl_b64 s[8:9], s[8:9], 3
	v_add_co_u32 v3, vcc_lo, v3, s8
	v_add_co_ci_u32_e64 v4, null, s9, v4, vcc_lo
	v_cmp_eq_u32_e32 vcc_lo, 0, v0
	s_add_i32 s9, s2, s23
	s_mul_i32 s8, s22, s0
	s_and_saveexec_b32 s10, vcc_lo
	s_cbranch_execz .LBB22_2
; %bb.1:
	s_lshl_b64 s[12:13], s[8:9], 3
	s_add_u32 s2, s16, s12
	s_addc_u32 s11, s17, s13
	s_lshl_b64 s[12:13], s[18:19], 3
	s_add_u32 s14, s2, s12
	s_addc_u32 s11, s11, s13
	s_lshl_b64 s[12:13], s[6:7], 3
	v_add_co_u32 v1, s2, v3, s12
	v_add_co_ci_u32_e64 v2, null, s13, v4, s2
	s_mul_i32 s2, s20, s7
	s_mul_hi_u32 s12, s20, s6
	global_load_dwordx2 v[1:2], v[1:2], off
	s_add_i32 s2, s12, s2
	s_mul_i32 s12, s21, s6
	s_add_i32 s13, s2, s12
	s_mul_i32 s12, s20, s6
	s_lshl_b64 s[12:13], s[12:13], 3
	s_add_u32 s12, s14, s12
	s_addc_u32 s13, s11, s13
	s_load_dwordx2 s[12:13], s[12:13], 0x0
	s_waitcnt vmcnt(0) lgkmcnt(0)
	v_fma_f64 v[1:2], v[1:2], s[12:13], 0
.LBB22_2:
	s_or_b32 exec_lo, exec_lo, s10
	s_and_saveexec_b32 s10, s1
	s_cbranch_execz .LBB22_8
; %bb.3:
	v_mad_u64_u32 v[5:6], null, s20, v0, 0
	s_lshl_b64 s[12:13], s[18:19], 3
	s_lshl_b64 s[8:9], s[8:9], 3
	s_add_u32 s1, s16, s12
	s_addc_u32 s2, s17, s13
	s_add_u32 s1, s1, s8
	s_addc_u32 s2, s2, s9
	v_mad_u64_u32 v[6:7], null, s21, v0, v[6:7]
	v_mov_b32_e32 v7, v0
	s_lshl_b64 s[8:9], s[20:21], 12
	s_mov_b32 s11, 0
	v_lshlrev_b64 v[5:6], 3, v[5:6]
	v_add_co_u32 v5, s1, s1, v5
	v_add_co_ci_u32_e64 v6, null, s2, v6, s1
	s_inst_prefetch 0x1
	s_branch .LBB22_5
	.p2align	6
.LBB22_4:                               ;   in Loop: Header=BB22_5 Depth=1
	s_or_b32 exec_lo, exec_lo, s2
	v_add_nc_u32_e32 v7, 0x200, v7
	v_add_co_u32 v3, s1, 0x1000, v3
	v_add_co_ci_u32_e64 v4, null, 0, v4, s1
	v_cmp_le_i32_e64 s1, s3, v7
	v_add_co_u32 v5, s2, v5, s8
	v_add_co_ci_u32_e64 v6, null, s9, v6, s2
	s_or_b32 s11, s1, s11
	s_andn2_b32 exec_lo, exec_lo, s11
	s_cbranch_execz .LBB22_7
.LBB22_5:                               ; =>This Inner Loop Header: Depth=1
	s_mov_b32 s2, exec_lo
	v_cmpx_lt_i32_e64 s6, v7
	s_cbranch_execz .LBB22_4
; %bb.6:                                ;   in Loop: Header=BB22_5 Depth=1
	global_load_dwordx2 v[8:9], v[3:4], off
	global_load_dwordx2 v[10:11], v[5:6], off
	s_waitcnt vmcnt(0)
	v_fma_f64 v[1:2], v[8:9], v[10:11], v[1:2]
	s_branch .LBB22_4
.LBB22_7:
	s_inst_prefetch 0x2
	s_or_b32 exec_lo, exec_lo, s11
.LBB22_8:
	s_or_b32 exec_lo, exec_lo, s10
	v_and_b32_e32 v10, 31, v0
	v_cmp_gt_u32_e64 s1, 32, v0
	v_lshlrev_b32_e32 v5, 3, v10
	s_and_saveexec_b32 s2, s1
; %bb.9:
	v_mov_b32_e32 v3, 0
	v_mov_b32_e32 v4, v3
	ds_write_b64 v5, v[3:4]
; %bb.10:
	s_or_b32 exec_lo, exec_lo, s2
	v_mbcnt_lo_u32_b32 v9, -1, 0
	s_mov_b32 s3, exec_lo
	s_waitcnt lgkmcnt(0)
	s_barrier
	buffer_gl0_inv
	v_lshl_or_b32 v4, v9, 2, 64
	v_cmp_gt_u32_e64 s2, 24, v9
	ds_bpermute_b32 v3, v4, v1
	ds_bpermute_b32 v4, v4, v2
	s_waitcnt lgkmcnt(0)
	v_add_f64 v[1:2], v[1:2], v[3:4]
	v_cndmask_b32_e64 v3, 0, 8, s2
	v_cmp_gt_u32_e64 s2, 28, v9
	v_add_lshl_u32 v6, v3, v9, 2
	ds_bpermute_b32 v3, v6, v1
	ds_bpermute_b32 v4, v6, v2
	s_waitcnt lgkmcnt(0)
	v_add_f64 v[1:2], v[1:2], v[3:4]
	v_cndmask_b32_e64 v3, 0, 4, s2
	v_cmp_gt_u32_e64 s2, 30, v9
	v_add_lshl_u32 v7, v3, v9, 2
	ds_bpermute_b32 v3, v7, v1
	ds_bpermute_b32 v4, v7, v2
	s_waitcnt lgkmcnt(0)
	v_add_f64 v[1:2], v[1:2], v[3:4]
	v_cndmask_b32_e64 v3, 0, 2, s2
	v_cmp_ne_u32_e64 s2, 31, v9
	v_add_lshl_u32 v8, v3, v9, 2
	ds_bpermute_b32 v3, v8, v1
	ds_bpermute_b32 v4, v8, v2
	s_waitcnt lgkmcnt(0)
	v_add_f64 v[1:2], v[1:2], v[3:4]
	v_add_co_ci_u32_e64 v3, null, 0, v9, s2
	v_lshlrev_b32_e32 v9, 2, v3
	ds_bpermute_b32 v3, v9, v1
	ds_bpermute_b32 v4, v9, v2
	v_cmpx_eq_u32_e32 0, v10
	s_cbranch_execz .LBB22_12
; %bb.11:
	s_waitcnt lgkmcnt(0)
	v_add_f64 v[1:2], v[1:2], v[3:4]
	v_lshrrev_b32_e32 v3, 2, v0
	v_and_b32_e32 v3, 0x78, v3
	ds_write_b64 v3, v[1:2]
.LBB22_12:
	s_or_b32 exec_lo, exec_lo, s3
	v_mov_b32_e32 v1, 0
	v_mov_b32_e32 v2, 0
	s_mov_b32 s3, exec_lo
	s_waitcnt lgkmcnt(0)
	s_barrier
	buffer_gl0_inv
	v_cmpx_gt_u32_e32 16, v0
	s_cbranch_execnz .LBB22_16
; %bb.13:
	s_or_b32 exec_lo, exec_lo, s3
	s_and_saveexec_b32 s2, s1
	s_cbranch_execnz .LBB22_17
.LBB22_14:
	s_or_b32 exec_lo, exec_lo, s2
	s_and_saveexec_b32 s1, vcc_lo
	s_cbranch_execnz .LBB22_18
.LBB22_15:
	s_endpgm
.LBB22_16:
	ds_read_b64 v[1:2], v5
	s_or_b32 exec_lo, exec_lo, s3
	s_and_saveexec_b32 s2, s1
	s_cbranch_execz .LBB22_14
.LBB22_17:
	s_waitcnt lgkmcnt(0)
	ds_bpermute_b32 v3, v6, v1
	ds_bpermute_b32 v4, v6, v2
	s_waitcnt lgkmcnt(0)
	v_add_f64 v[0:1], v[1:2], v[3:4]
	ds_bpermute_b32 v2, v7, v0
	ds_bpermute_b32 v3, v7, v1
	s_waitcnt lgkmcnt(0)
	v_add_f64 v[0:1], v[0:1], v[2:3]
	;; [unrolled: 4-line block ×4, first 2 shown]
	s_or_b32 exec_lo, exec_lo, s2
	s_and_saveexec_b32 s1, vcc_lo
	s_cbranch_execz .LBB22_15
.LBB22_18:
	s_load_dwordx4 s[8:11], s[4:5], 0x48
	v_mov_b32_e32 v0, 0
	s_waitcnt lgkmcnt(0)
	s_mul_i32 s1, s11, s0
	s_mul_hi_u32 s2, s10, s0
	s_mul_i32 s0, s10, s0
	s_add_i32 s1, s2, s1
	s_lshl_b64 s[0:1], s[0:1], 3
	s_add_u32 s2, s8, s0
	s_addc_u32 s3, s9, s1
	s_lshl_b64 s[0:1], s[6:7], 3
	s_add_u32 s0, s2, s0
	s_addc_u32 s1, s3, s1
	global_store_dwordx2 v0, v[1:2], s[0:1]
	s_endpgm
	.section	.rodata,"a",@progbits
	.p2align	6, 0x0
	.amdhsa_kernel _ZL20rocblas_trmvt_kernelILi512ELb1ELb0ELb0EPKdPdS2_EviT3_lllT4_lllT5_li
		.amdhsa_group_segment_fixed_size 256
		.amdhsa_private_segment_fixed_size 0
		.amdhsa_kernarg_size 92
		.amdhsa_user_sgpr_count 6
		.amdhsa_user_sgpr_private_segment_buffer 1
		.amdhsa_user_sgpr_dispatch_ptr 0
		.amdhsa_user_sgpr_queue_ptr 0
		.amdhsa_user_sgpr_kernarg_segment_ptr 1
		.amdhsa_user_sgpr_dispatch_id 0
		.amdhsa_user_sgpr_flat_scratch_init 0
		.amdhsa_user_sgpr_private_segment_size 0
		.amdhsa_wavefront_size32 1
		.amdhsa_uses_dynamic_stack 0
		.amdhsa_system_sgpr_private_segment_wavefront_offset 0
		.amdhsa_system_sgpr_workgroup_id_x 1
		.amdhsa_system_sgpr_workgroup_id_y 0
		.amdhsa_system_sgpr_workgroup_id_z 1
		.amdhsa_system_sgpr_workgroup_info 0
		.amdhsa_system_vgpr_workitem_id 0
		.amdhsa_next_free_vgpr 12
		.amdhsa_next_free_sgpr 24
		.amdhsa_reserve_vcc 1
		.amdhsa_reserve_flat_scratch 0
		.amdhsa_float_round_mode_32 0
		.amdhsa_float_round_mode_16_64 0
		.amdhsa_float_denorm_mode_32 3
		.amdhsa_float_denorm_mode_16_64 3
		.amdhsa_dx10_clamp 1
		.amdhsa_ieee_mode 1
		.amdhsa_fp16_overflow 0
		.amdhsa_workgroup_processor_mode 1
		.amdhsa_memory_ordered 1
		.amdhsa_forward_progress 1
		.amdhsa_shared_vgpr_count 0
		.amdhsa_exception_fp_ieee_invalid_op 0
		.amdhsa_exception_fp_denorm_src 0
		.amdhsa_exception_fp_ieee_div_zero 0
		.amdhsa_exception_fp_ieee_overflow 0
		.amdhsa_exception_fp_ieee_underflow 0
		.amdhsa_exception_fp_ieee_inexact 0
		.amdhsa_exception_int_div_zero 0
	.end_amdhsa_kernel
	.section	.text._ZL20rocblas_trmvt_kernelILi512ELb1ELb0ELb0EPKdPdS2_EviT3_lllT4_lllT5_li,"axG",@progbits,_ZL20rocblas_trmvt_kernelILi512ELb1ELb0ELb0EPKdPdS2_EviT3_lllT4_lllT5_li,comdat
.Lfunc_end22:
	.size	_ZL20rocblas_trmvt_kernelILi512ELb1ELb0ELb0EPKdPdS2_EviT3_lllT4_lllT5_li, .Lfunc_end22-_ZL20rocblas_trmvt_kernelILi512ELb1ELb0ELb0EPKdPdS2_EviT3_lllT4_lllT5_li
                                        ; -- End function
	.set _ZL20rocblas_trmvt_kernelILi512ELb1ELb0ELb0EPKdPdS2_EviT3_lllT4_lllT5_li.num_vgpr, 12
	.set _ZL20rocblas_trmvt_kernelILi512ELb1ELb0ELb0EPKdPdS2_EviT3_lllT4_lllT5_li.num_agpr, 0
	.set _ZL20rocblas_trmvt_kernelILi512ELb1ELb0ELb0EPKdPdS2_EviT3_lllT4_lllT5_li.numbered_sgpr, 24
	.set _ZL20rocblas_trmvt_kernelILi512ELb1ELb0ELb0EPKdPdS2_EviT3_lllT4_lllT5_li.num_named_barrier, 0
	.set _ZL20rocblas_trmvt_kernelILi512ELb1ELb0ELb0EPKdPdS2_EviT3_lllT4_lllT5_li.private_seg_size, 0
	.set _ZL20rocblas_trmvt_kernelILi512ELb1ELb0ELb0EPKdPdS2_EviT3_lllT4_lllT5_li.uses_vcc, 1
	.set _ZL20rocblas_trmvt_kernelILi512ELb1ELb0ELb0EPKdPdS2_EviT3_lllT4_lllT5_li.uses_flat_scratch, 0
	.set _ZL20rocblas_trmvt_kernelILi512ELb1ELb0ELb0EPKdPdS2_EviT3_lllT4_lllT5_li.has_dyn_sized_stack, 0
	.set _ZL20rocblas_trmvt_kernelILi512ELb1ELb0ELb0EPKdPdS2_EviT3_lllT4_lllT5_li.has_recursion, 0
	.set _ZL20rocblas_trmvt_kernelILi512ELb1ELb0ELb0EPKdPdS2_EviT3_lllT4_lllT5_li.has_indirect_call, 0
	.section	.AMDGPU.csdata,"",@progbits
; Kernel info:
; codeLenInByte = 1196
; TotalNumSgprs: 26
; NumVgprs: 12
; ScratchSize: 0
; MemoryBound: 1
; FloatMode: 240
; IeeeMode: 1
; LDSByteSize: 256 bytes/workgroup (compile time only)
; SGPRBlocks: 0
; VGPRBlocks: 1
; NumSGPRsForWavesPerEU: 26
; NumVGPRsForWavesPerEU: 12
; Occupancy: 16
; WaveLimiterHint : 0
; COMPUTE_PGM_RSRC2:SCRATCH_EN: 0
; COMPUTE_PGM_RSRC2:USER_SGPR: 6
; COMPUTE_PGM_RSRC2:TRAP_HANDLER: 0
; COMPUTE_PGM_RSRC2:TGID_X_EN: 1
; COMPUTE_PGM_RSRC2:TGID_Y_EN: 0
; COMPUTE_PGM_RSRC2:TGID_Z_EN: 1
; COMPUTE_PGM_RSRC2:TIDIG_COMP_CNT: 0
	.section	.text._ZL20rocblas_trmvt_kernelILi512ELb1ELb1ELb0EPKdPdS2_EviT3_lllT4_lllT5_li,"axG",@progbits,_ZL20rocblas_trmvt_kernelILi512ELb1ELb1ELb0EPKdPdS2_EviT3_lllT4_lllT5_li,comdat
	.globl	_ZL20rocblas_trmvt_kernelILi512ELb1ELb1ELb0EPKdPdS2_EviT3_lllT4_lllT5_li ; -- Begin function _ZL20rocblas_trmvt_kernelILi512ELb1ELb1ELb0EPKdPdS2_EviT3_lllT4_lllT5_li
	.p2align	8
	.type	_ZL20rocblas_trmvt_kernelILi512ELb1ELb1ELb0EPKdPdS2_EviT3_lllT4_lllT5_li,@function
_ZL20rocblas_trmvt_kernelILi512ELb1ELb1ELb0EPKdPdS2_EviT3_lllT4_lllT5_li: ; @_ZL20rocblas_trmvt_kernelILi512ELb1ELb1ELb0EPKdPdS2_EviT3_lllT4_lllT5_li
; %bb.0:
	s_clause 0x1
	s_load_dwordx16 s[8:23], s[4:5], 0x8
	s_load_dword s3, s[4:5], 0x0
	s_mov_b32 s0, s7
	v_mov_b32_e32 v1, 0
	v_mov_b32_e32 v2, 0
	s_waitcnt lgkmcnt(0)
	s_mul_i32 s1, s15, s7
	s_mul_hi_u32 s2, s14, s7
	s_mul_i32 s14, s14, s7
	s_add_i32 s15, s2, s1
	v_cmp_gt_i32_e64 s1, s3, v0
	s_lshl_b64 s[14:15], s[14:15], 3
	s_mul_i32 s23, s23, s7
	s_mul_hi_u32 s2, s22, s7
	s_add_u32 s7, s8, s14
	v_cndmask_b32_e64 v3, 0, v0, s1
	s_addc_u32 s14, s9, s15
	s_lshl_b64 s[8:9], s[10:11], 3
	s_mul_hi_u32 s10, s12, s6
	s_add_u32 s11, s7, s8
	s_addc_u32 s14, s14, s9
	s_ashr_i32 s7, s6, 31
	v_lshlrev_b32_e32 v3, 3, v3
	s_mul_i32 s8, s12, s7
	s_mul_i32 s9, s13, s6
	s_add_i32 s10, s10, s8
	s_mul_i32 s8, s12, s6
	s_add_i32 s9, s10, s9
	v_add_co_u32 v3, s10, s11, v3
	v_add_co_ci_u32_e64 v4, null, s14, 0, s10
	s_lshl_b64 s[8:9], s[8:9], 3
	v_add_co_u32 v3, vcc_lo, v3, s8
	v_add_co_ci_u32_e64 v4, null, s9, v4, vcc_lo
	v_cmp_eq_u32_e32 vcc_lo, 0, v0
	s_add_i32 s9, s2, s23
	s_mul_i32 s8, s22, s0
	s_and_saveexec_b32 s10, vcc_lo
	s_cbranch_execz .LBB23_2
; %bb.1:
	s_lshl_b64 s[12:13], s[8:9], 3
	s_add_u32 s2, s16, s12
	s_addc_u32 s11, s17, s13
	s_lshl_b64 s[12:13], s[18:19], 3
	s_add_u32 s14, s2, s12
	s_addc_u32 s11, s11, s13
	s_lshl_b64 s[12:13], s[6:7], 3
	v_add_co_u32 v1, s2, v3, s12
	v_add_co_ci_u32_e64 v2, null, s13, v4, s2
	s_mul_i32 s2, s20, s7
	s_mul_hi_u32 s12, s20, s6
	global_load_dwordx2 v[1:2], v[1:2], off
	s_add_i32 s2, s12, s2
	s_mul_i32 s12, s21, s6
	s_add_i32 s13, s2, s12
	s_mul_i32 s12, s20, s6
	s_lshl_b64 s[12:13], s[12:13], 3
	s_add_u32 s12, s14, s12
	s_addc_u32 s13, s11, s13
	s_load_dwordx2 s[12:13], s[12:13], 0x0
	s_waitcnt vmcnt(0) lgkmcnt(0)
	v_fma_f64 v[1:2], v[1:2], s[12:13], 0
.LBB23_2:
	s_or_b32 exec_lo, exec_lo, s10
	s_and_saveexec_b32 s10, s1
	s_cbranch_execz .LBB23_8
; %bb.3:
	v_mad_u64_u32 v[5:6], null, s20, v0, 0
	s_lshl_b64 s[12:13], s[18:19], 3
	s_lshl_b64 s[8:9], s[8:9], 3
	s_add_u32 s1, s16, s12
	s_addc_u32 s2, s17, s13
	s_add_u32 s1, s1, s8
	s_addc_u32 s2, s2, s9
	v_mad_u64_u32 v[6:7], null, s21, v0, v[6:7]
	v_mov_b32_e32 v7, v0
	s_lshl_b64 s[8:9], s[20:21], 12
	s_mov_b32 s11, 0
	v_lshlrev_b64 v[5:6], 3, v[5:6]
	v_add_co_u32 v5, s1, s1, v5
	v_add_co_ci_u32_e64 v6, null, s2, v6, s1
	s_inst_prefetch 0x1
	s_branch .LBB23_5
	.p2align	6
.LBB23_4:                               ;   in Loop: Header=BB23_5 Depth=1
	s_or_b32 exec_lo, exec_lo, s2
	v_add_nc_u32_e32 v7, 0x200, v7
	v_add_co_u32 v3, s1, 0x1000, v3
	v_add_co_ci_u32_e64 v4, null, 0, v4, s1
	v_cmp_le_i32_e64 s1, s3, v7
	v_add_co_u32 v5, s2, v5, s8
	v_add_co_ci_u32_e64 v6, null, s9, v6, s2
	s_or_b32 s11, s1, s11
	s_andn2_b32 exec_lo, exec_lo, s11
	s_cbranch_execz .LBB23_7
.LBB23_5:                               ; =>This Inner Loop Header: Depth=1
	s_mov_b32 s2, exec_lo
	v_cmpx_lt_i32_e64 s6, v7
	s_cbranch_execz .LBB23_4
; %bb.6:                                ;   in Loop: Header=BB23_5 Depth=1
	global_load_dwordx2 v[8:9], v[3:4], off
	global_load_dwordx2 v[10:11], v[5:6], off
	s_waitcnt vmcnt(0)
	v_fma_f64 v[1:2], v[8:9], v[10:11], v[1:2]
	s_branch .LBB23_4
.LBB23_7:
	s_inst_prefetch 0x2
	s_or_b32 exec_lo, exec_lo, s11
.LBB23_8:
	s_or_b32 exec_lo, exec_lo, s10
	v_and_b32_e32 v10, 31, v0
	v_cmp_gt_u32_e64 s1, 32, v0
	v_lshlrev_b32_e32 v5, 3, v10
	s_and_saveexec_b32 s2, s1
; %bb.9:
	v_mov_b32_e32 v3, 0
	v_mov_b32_e32 v4, v3
	ds_write_b64 v5, v[3:4]
; %bb.10:
	s_or_b32 exec_lo, exec_lo, s2
	v_mbcnt_lo_u32_b32 v9, -1, 0
	s_mov_b32 s3, exec_lo
	s_waitcnt lgkmcnt(0)
	s_barrier
	buffer_gl0_inv
	v_lshl_or_b32 v4, v9, 2, 64
	v_cmp_gt_u32_e64 s2, 24, v9
	ds_bpermute_b32 v3, v4, v1
	ds_bpermute_b32 v4, v4, v2
	s_waitcnt lgkmcnt(0)
	v_add_f64 v[1:2], v[1:2], v[3:4]
	v_cndmask_b32_e64 v3, 0, 8, s2
	v_cmp_gt_u32_e64 s2, 28, v9
	v_add_lshl_u32 v6, v3, v9, 2
	ds_bpermute_b32 v3, v6, v1
	ds_bpermute_b32 v4, v6, v2
	s_waitcnt lgkmcnt(0)
	v_add_f64 v[1:2], v[1:2], v[3:4]
	v_cndmask_b32_e64 v3, 0, 4, s2
	v_cmp_gt_u32_e64 s2, 30, v9
	v_add_lshl_u32 v7, v3, v9, 2
	ds_bpermute_b32 v3, v7, v1
	ds_bpermute_b32 v4, v7, v2
	s_waitcnt lgkmcnt(0)
	v_add_f64 v[1:2], v[1:2], v[3:4]
	v_cndmask_b32_e64 v3, 0, 2, s2
	v_cmp_ne_u32_e64 s2, 31, v9
	v_add_lshl_u32 v8, v3, v9, 2
	ds_bpermute_b32 v3, v8, v1
	ds_bpermute_b32 v4, v8, v2
	s_waitcnt lgkmcnt(0)
	v_add_f64 v[1:2], v[1:2], v[3:4]
	v_add_co_ci_u32_e64 v3, null, 0, v9, s2
	v_lshlrev_b32_e32 v9, 2, v3
	ds_bpermute_b32 v3, v9, v1
	ds_bpermute_b32 v4, v9, v2
	v_cmpx_eq_u32_e32 0, v10
	s_cbranch_execz .LBB23_12
; %bb.11:
	s_waitcnt lgkmcnt(0)
	v_add_f64 v[1:2], v[1:2], v[3:4]
	v_lshrrev_b32_e32 v3, 2, v0
	v_and_b32_e32 v3, 0x78, v3
	ds_write_b64 v3, v[1:2]
.LBB23_12:
	s_or_b32 exec_lo, exec_lo, s3
	v_mov_b32_e32 v1, 0
	v_mov_b32_e32 v2, 0
	s_mov_b32 s3, exec_lo
	s_waitcnt lgkmcnt(0)
	s_barrier
	buffer_gl0_inv
	v_cmpx_gt_u32_e32 16, v0
	s_cbranch_execnz .LBB23_16
; %bb.13:
	s_or_b32 exec_lo, exec_lo, s3
	s_and_saveexec_b32 s2, s1
	s_cbranch_execnz .LBB23_17
.LBB23_14:
	s_or_b32 exec_lo, exec_lo, s2
	s_and_saveexec_b32 s1, vcc_lo
	s_cbranch_execnz .LBB23_18
.LBB23_15:
	s_endpgm
.LBB23_16:
	ds_read_b64 v[1:2], v5
	s_or_b32 exec_lo, exec_lo, s3
	s_and_saveexec_b32 s2, s1
	s_cbranch_execz .LBB23_14
.LBB23_17:
	s_waitcnt lgkmcnt(0)
	ds_bpermute_b32 v3, v6, v1
	ds_bpermute_b32 v4, v6, v2
	s_waitcnt lgkmcnt(0)
	v_add_f64 v[0:1], v[1:2], v[3:4]
	ds_bpermute_b32 v2, v7, v0
	ds_bpermute_b32 v3, v7, v1
	s_waitcnt lgkmcnt(0)
	v_add_f64 v[0:1], v[0:1], v[2:3]
	;; [unrolled: 4-line block ×4, first 2 shown]
	s_or_b32 exec_lo, exec_lo, s2
	s_and_saveexec_b32 s1, vcc_lo
	s_cbranch_execz .LBB23_15
.LBB23_18:
	s_load_dwordx4 s[8:11], s[4:5], 0x48
	v_mov_b32_e32 v0, 0
	s_waitcnt lgkmcnt(0)
	s_mul_i32 s1, s11, s0
	s_mul_hi_u32 s2, s10, s0
	s_mul_i32 s0, s10, s0
	s_add_i32 s1, s2, s1
	s_lshl_b64 s[0:1], s[0:1], 3
	s_add_u32 s2, s8, s0
	s_addc_u32 s3, s9, s1
	s_lshl_b64 s[0:1], s[6:7], 3
	s_add_u32 s0, s2, s0
	s_addc_u32 s1, s3, s1
	global_store_dwordx2 v0, v[1:2], s[0:1]
	s_endpgm
	.section	.rodata,"a",@progbits
	.p2align	6, 0x0
	.amdhsa_kernel _ZL20rocblas_trmvt_kernelILi512ELb1ELb1ELb0EPKdPdS2_EviT3_lllT4_lllT5_li
		.amdhsa_group_segment_fixed_size 256
		.amdhsa_private_segment_fixed_size 0
		.amdhsa_kernarg_size 92
		.amdhsa_user_sgpr_count 6
		.amdhsa_user_sgpr_private_segment_buffer 1
		.amdhsa_user_sgpr_dispatch_ptr 0
		.amdhsa_user_sgpr_queue_ptr 0
		.amdhsa_user_sgpr_kernarg_segment_ptr 1
		.amdhsa_user_sgpr_dispatch_id 0
		.amdhsa_user_sgpr_flat_scratch_init 0
		.amdhsa_user_sgpr_private_segment_size 0
		.amdhsa_wavefront_size32 1
		.amdhsa_uses_dynamic_stack 0
		.amdhsa_system_sgpr_private_segment_wavefront_offset 0
		.amdhsa_system_sgpr_workgroup_id_x 1
		.amdhsa_system_sgpr_workgroup_id_y 0
		.amdhsa_system_sgpr_workgroup_id_z 1
		.amdhsa_system_sgpr_workgroup_info 0
		.amdhsa_system_vgpr_workitem_id 0
		.amdhsa_next_free_vgpr 12
		.amdhsa_next_free_sgpr 24
		.amdhsa_reserve_vcc 1
		.amdhsa_reserve_flat_scratch 0
		.amdhsa_float_round_mode_32 0
		.amdhsa_float_round_mode_16_64 0
		.amdhsa_float_denorm_mode_32 3
		.amdhsa_float_denorm_mode_16_64 3
		.amdhsa_dx10_clamp 1
		.amdhsa_ieee_mode 1
		.amdhsa_fp16_overflow 0
		.amdhsa_workgroup_processor_mode 1
		.amdhsa_memory_ordered 1
		.amdhsa_forward_progress 1
		.amdhsa_shared_vgpr_count 0
		.amdhsa_exception_fp_ieee_invalid_op 0
		.amdhsa_exception_fp_denorm_src 0
		.amdhsa_exception_fp_ieee_div_zero 0
		.amdhsa_exception_fp_ieee_overflow 0
		.amdhsa_exception_fp_ieee_underflow 0
		.amdhsa_exception_fp_ieee_inexact 0
		.amdhsa_exception_int_div_zero 0
	.end_amdhsa_kernel
	.section	.text._ZL20rocblas_trmvt_kernelILi512ELb1ELb1ELb0EPKdPdS2_EviT3_lllT4_lllT5_li,"axG",@progbits,_ZL20rocblas_trmvt_kernelILi512ELb1ELb1ELb0EPKdPdS2_EviT3_lllT4_lllT5_li,comdat
.Lfunc_end23:
	.size	_ZL20rocblas_trmvt_kernelILi512ELb1ELb1ELb0EPKdPdS2_EviT3_lllT4_lllT5_li, .Lfunc_end23-_ZL20rocblas_trmvt_kernelILi512ELb1ELb1ELb0EPKdPdS2_EviT3_lllT4_lllT5_li
                                        ; -- End function
	.set _ZL20rocblas_trmvt_kernelILi512ELb1ELb1ELb0EPKdPdS2_EviT3_lllT4_lllT5_li.num_vgpr, 12
	.set _ZL20rocblas_trmvt_kernelILi512ELb1ELb1ELb0EPKdPdS2_EviT3_lllT4_lllT5_li.num_agpr, 0
	.set _ZL20rocblas_trmvt_kernelILi512ELb1ELb1ELb0EPKdPdS2_EviT3_lllT4_lllT5_li.numbered_sgpr, 24
	.set _ZL20rocblas_trmvt_kernelILi512ELb1ELb1ELb0EPKdPdS2_EviT3_lllT4_lllT5_li.num_named_barrier, 0
	.set _ZL20rocblas_trmvt_kernelILi512ELb1ELb1ELb0EPKdPdS2_EviT3_lllT4_lllT5_li.private_seg_size, 0
	.set _ZL20rocblas_trmvt_kernelILi512ELb1ELb1ELb0EPKdPdS2_EviT3_lllT4_lllT5_li.uses_vcc, 1
	.set _ZL20rocblas_trmvt_kernelILi512ELb1ELb1ELb0EPKdPdS2_EviT3_lllT4_lllT5_li.uses_flat_scratch, 0
	.set _ZL20rocblas_trmvt_kernelILi512ELb1ELb1ELb0EPKdPdS2_EviT3_lllT4_lllT5_li.has_dyn_sized_stack, 0
	.set _ZL20rocblas_trmvt_kernelILi512ELb1ELb1ELb0EPKdPdS2_EviT3_lllT4_lllT5_li.has_recursion, 0
	.set _ZL20rocblas_trmvt_kernelILi512ELb1ELb1ELb0EPKdPdS2_EviT3_lllT4_lllT5_li.has_indirect_call, 0
	.section	.AMDGPU.csdata,"",@progbits
; Kernel info:
; codeLenInByte = 1196
; TotalNumSgprs: 26
; NumVgprs: 12
; ScratchSize: 0
; MemoryBound: 1
; FloatMode: 240
; IeeeMode: 1
; LDSByteSize: 256 bytes/workgroup (compile time only)
; SGPRBlocks: 0
; VGPRBlocks: 1
; NumSGPRsForWavesPerEU: 26
; NumVGPRsForWavesPerEU: 12
; Occupancy: 16
; WaveLimiterHint : 0
; COMPUTE_PGM_RSRC2:SCRATCH_EN: 0
; COMPUTE_PGM_RSRC2:USER_SGPR: 6
; COMPUTE_PGM_RSRC2:TRAP_HANDLER: 0
; COMPUTE_PGM_RSRC2:TGID_X_EN: 1
; COMPUTE_PGM_RSRC2:TGID_Y_EN: 0
; COMPUTE_PGM_RSRC2:TGID_Z_EN: 1
; COMPUTE_PGM_RSRC2:TIDIG_COMP_CNT: 0
	.section	.text._ZL20rocblas_trmvn_kernelILi64ELi16ELb0ELb1EPK19rocblas_complex_numIfEPS1_S4_EviT3_lllT4_lllT5_li,"axG",@progbits,_ZL20rocblas_trmvn_kernelILi64ELi16ELb0ELb1EPK19rocblas_complex_numIfEPS1_S4_EviT3_lllT4_lllT5_li,comdat
	.globl	_ZL20rocblas_trmvn_kernelILi64ELi16ELb0ELb1EPK19rocblas_complex_numIfEPS1_S4_EviT3_lllT4_lllT5_li ; -- Begin function _ZL20rocblas_trmvn_kernelILi64ELi16ELb0ELb1EPK19rocblas_complex_numIfEPS1_S4_EviT3_lllT4_lllT5_li
	.p2align	8
	.type	_ZL20rocblas_trmvn_kernelILi64ELi16ELb0ELb1EPK19rocblas_complex_numIfEPS1_S4_EviT3_lllT4_lllT5_li,@function
_ZL20rocblas_trmvn_kernelILi64ELi16ELb0ELb1EPK19rocblas_complex_numIfEPS1_S4_EviT3_lllT4_lllT5_li: ; @_ZL20rocblas_trmvn_kernelILi64ELi16ELb0ELb1EPK19rocblas_complex_numIfEPS1_S4_EviT3_lllT4_lllT5_li
; %bb.0:
	s_clause 0x1
	s_load_dwordx16 s[8:23], s[4:5], 0x8
	s_load_dword s24, s[4:5], 0x0
	v_lshl_add_u32 v2, s6, 6, v0
	v_mov_b32_e32 v4, 0
	v_cmp_eq_u32_e64 s0, 0, v1
	v_mov_b32_e32 v5, v4
	s_waitcnt lgkmcnt(0)
	s_mul_i32 s1, s23, s7
	v_cmp_gt_i32_e32 vcc_lo, s24, v2
	s_mul_hi_u32 s2, s22, s7
	s_add_i32 s3, s2, s1
	s_mul_i32 s2, s22, s7
	s_and_b32 s0, s0, vcc_lo
	s_and_saveexec_b32 s1, s0
	s_cbranch_execz .LBB24_2
; %bb.1:
	v_ashrrev_i32_e32 v5, 31, v2
	v_mul_lo_u32 v6, s21, v2
	v_mad_u64_u32 v[3:4], null, s20, v2, 0
	s_lshl_b64 s[22:23], s[2:3], 3
	v_mul_lo_u32 v5, s20, v5
	s_add_u32 s0, s16, s22
	s_addc_u32 s6, s17, s23
	s_lshl_b64 s[22:23], s[18:19], 3
	s_add_u32 s0, s0, s22
	s_addc_u32 s6, s6, s23
	v_add3_u32 v4, v4, v5, v6
	v_lshlrev_b64 v[3:4], 3, v[3:4]
	v_add_co_u32 v3, s0, s0, v3
	v_add_co_ci_u32_e64 v4, null, s6, v4, s0
	global_load_dwordx2 v[4:5], v[3:4], off
.LBB24_2:
	s_or_b32 exec_lo, exec_lo, s1
	s_load_dword s6, s[4:5], 0x6c
	s_mov_b32 s22, exec_lo
	v_cmpx_gt_i32_e64 s24, v1
	s_cbranch_execz .LBB24_8
; %bb.3:
	v_mad_u64_u32 v[6:7], null, s12, v1, 0
	v_mad_u64_u32 v[8:9], null, s20, v1, 0
	s_lshl_b64 s[0:1], s[2:3], 3
	s_lshl_b64 s[2:3], s[18:19], 3
	s_mul_i32 s15, s15, s7
	s_add_u32 s2, s16, s2
	s_mul_hi_u32 s18, s14, s7
	s_addc_u32 s3, s17, s3
	v_mad_u64_u32 v[10:11], null, s13, v1, v[7:8]
	s_add_u32 s16, s2, s0
	s_mul_i32 s14, s14, s7
	s_addc_u32 s17, s3, s1
	s_add_i32 s15, s18, s15
	s_lshl_b64 s[0:1], s[10:11], 3
	s_lshl_b64 s[10:11], s[14:15], 3
	v_mad_u64_u32 v[11:12], null, s21, v1, v[9:10]
	v_mov_b32_e32 v7, v10
	v_ashrrev_i32_e32 v3, 31, v2
	s_lshl_b64 s[2:3], s[20:21], 7
	s_add_u32 s0, s0, s10
	s_addc_u32 s1, s1, s11
	v_lshlrev_b64 v[6:7], 3, v[6:7]
	v_mov_b32_e32 v9, v11
	s_mov_b32 s10, 0
	v_add_co_u32 v10, s0, s0, v6
	v_lshlrev_b64 v[8:9], 3, v[8:9]
	v_add_co_ci_u32_e64 v11, null, s1, v7, s0
	v_lshlrev_b64 v[6:7], 3, v[2:3]
	v_add_co_u32 v3, s0, s16, v8
	v_add_co_ci_u32_e64 v8, null, s17, v9, s0
	v_add_co_u32 v9, s0, v10, v6
	v_add_co_ci_u32_e64 v10, null, v11, v7, s0
	;; [unrolled: 2-line block ×4, first 2 shown]
	v_mov_b32_e32 v3, v1
	s_lshl_b64 s[8:9], s[12:13], 7
	s_inst_prefetch 0x1
	s_branch .LBB24_5
	.p2align	6
.LBB24_4:                               ;   in Loop: Header=BB24_5 Depth=1
	s_or_b32 exec_lo, exec_lo, s1
	v_add_nc_u32_e32 v3, 16, v3
	v_add_co_u32 v6, s0, v6, s2
	v_add_co_ci_u32_e64 v7, null, s3, v7, s0
	v_cmp_le_i32_e64 s0, s24, v3
	v_add_co_u32 v8, s1, v8, s8
	v_add_co_ci_u32_e64 v9, null, s9, v9, s1
	s_or_b32 s10, s0, s10
	s_andn2_b32 exec_lo, exec_lo, s10
	s_cbranch_execz .LBB24_7
.LBB24_5:                               ; =>This Inner Loop Header: Depth=1
	s_mov_b32 s1, exec_lo
	v_cmpx_gt_i32_e64 v3, v2
	s_cbranch_execz .LBB24_4
; %bb.6:                                ;   in Loop: Header=BB24_5 Depth=1
	global_load_dwordx2 v[10:11], v[8:9], off
	global_load_dwordx2 v[12:13], v[6:7], off offset:-4
	s_waitcnt vmcnt(0)
	v_mul_f32_e32 v14, v13, v11
	v_mul_f32_e32 v11, v12, v11
	v_fma_f32 v12, v12, v10, -v14
	v_fmac_f32_e32 v11, v13, v10
	v_add_f32_e32 v4, v4, v12
	v_add_f32_e32 v5, v5, v11
	s_branch .LBB24_4
.LBB24_7:
	s_inst_prefetch 0x2
	s_or_b32 exec_lo, exec_lo, s10
.LBB24_8:
	s_or_b32 exec_lo, exec_lo, s22
	v_lshlrev_b32_e32 v3, 3, v0
	s_waitcnt lgkmcnt(0)
	s_and_b32 s1, 0xffff, s6
	s_mov_b32 s2, exec_lo
	v_mad_u32_u24 v0, v1, s1, v0
	v_lshl_add_u32 v6, v1, 9, v3
	s_waitcnt vmcnt(0)
	ds_write_b64 v6, v[4:5]
	s_waitcnt lgkmcnt(0)
	s_barrier
	buffer_gl0_inv
	v_cmpx_gt_u32_e32 64, v0
	s_cbranch_execz .LBB24_11
; %bb.9:
	v_mul_u32_u24_e32 v0, s1, v1
	v_lshl_add_u32 v0, v0, 3, v3
	ds_read2st64_b64 v[3:6], v0 offset1:1
	ds_read2st64_b64 v[7:10], v0 offset0:2 offset1:3
	ds_read2st64_b64 v[11:14], v0 offset0:4 offset1:5
	s_waitcnt lgkmcnt(2)
	v_add_f32_e32 v1, v3, v5
	v_add_f32_e32 v15, v4, v6
	ds_read2st64_b64 v[3:6], v0 offset0:6 offset1:7
	s_waitcnt lgkmcnt(2)
	v_add_f32_e32 v1, v1, v7
	v_add_f32_e32 v7, v15, v8
	v_add_f32_e32 v1, v1, v9
	v_add_f32_e32 v15, v7, v10
	ds_read2st64_b64 v[7:10], v0 offset0:8 offset1:9
	s_waitcnt lgkmcnt(2)
	v_add_f32_e32 v1, v1, v11
	v_add_f32_e32 v11, v15, v12
	;; [unrolled: 6-line block ×5, first 2 shown]
	v_add_f32_e32 v1, v1, v13
	v_add_f32_e32 v11, v11, v14
	s_waitcnt lgkmcnt(1)
	v_add_f32_e32 v1, v1, v3
	v_add_f32_e32 v3, v11, v4
	;; [unrolled: 1-line block ×4, first 2 shown]
	s_waitcnt lgkmcnt(0)
	v_add_f32_e32 v1, v1, v7
	v_add_f32_e32 v4, v3, v8
	;; [unrolled: 1-line block ×4, first 2 shown]
	ds_write_b64 v0, v[3:4]
	s_and_b32 exec_lo, exec_lo, vcc_lo
	s_cbranch_execz .LBB24_11
; %bb.10:
	s_load_dwordx4 s[0:3], s[4:5], 0x48
	ds_read_b64 v[0:1], v0
	v_ashrrev_i32_e32 v3, 31, v2
	v_lshlrev_b64 v[2:3], 3, v[2:3]
	s_waitcnt lgkmcnt(0)
	s_mul_i32 s3, s3, s7
	s_mul_hi_u32 s4, s2, s7
	s_mul_i32 s2, s2, s7
	s_add_i32 s3, s4, s3
	s_lshl_b64 s[2:3], s[2:3], 3
	s_add_u32 s0, s0, s2
	s_addc_u32 s1, s1, s3
	v_add_co_u32 v2, vcc_lo, s0, v2
	v_add_co_ci_u32_e64 v3, null, s1, v3, vcc_lo
	global_store_dwordx2 v[2:3], v[0:1], off
.LBB24_11:
	s_endpgm
	.section	.rodata,"a",@progbits
	.p2align	6, 0x0
	.amdhsa_kernel _ZL20rocblas_trmvn_kernelILi64ELi16ELb0ELb1EPK19rocblas_complex_numIfEPS1_S4_EviT3_lllT4_lllT5_li
		.amdhsa_group_segment_fixed_size 8192
		.amdhsa_private_segment_fixed_size 0
		.amdhsa_kernarg_size 352
		.amdhsa_user_sgpr_count 6
		.amdhsa_user_sgpr_private_segment_buffer 1
		.amdhsa_user_sgpr_dispatch_ptr 0
		.amdhsa_user_sgpr_queue_ptr 0
		.amdhsa_user_sgpr_kernarg_segment_ptr 1
		.amdhsa_user_sgpr_dispatch_id 0
		.amdhsa_user_sgpr_flat_scratch_init 0
		.amdhsa_user_sgpr_private_segment_size 0
		.amdhsa_wavefront_size32 1
		.amdhsa_uses_dynamic_stack 0
		.amdhsa_system_sgpr_private_segment_wavefront_offset 0
		.amdhsa_system_sgpr_workgroup_id_x 1
		.amdhsa_system_sgpr_workgroup_id_y 0
		.amdhsa_system_sgpr_workgroup_id_z 1
		.amdhsa_system_sgpr_workgroup_info 0
		.amdhsa_system_vgpr_workitem_id 1
		.amdhsa_next_free_vgpr 16
		.amdhsa_next_free_sgpr 25
		.amdhsa_reserve_vcc 1
		.amdhsa_reserve_flat_scratch 0
		.amdhsa_float_round_mode_32 0
		.amdhsa_float_round_mode_16_64 0
		.amdhsa_float_denorm_mode_32 3
		.amdhsa_float_denorm_mode_16_64 3
		.amdhsa_dx10_clamp 1
		.amdhsa_ieee_mode 1
		.amdhsa_fp16_overflow 0
		.amdhsa_workgroup_processor_mode 1
		.amdhsa_memory_ordered 1
		.amdhsa_forward_progress 1
		.amdhsa_shared_vgpr_count 0
		.amdhsa_exception_fp_ieee_invalid_op 0
		.amdhsa_exception_fp_denorm_src 0
		.amdhsa_exception_fp_ieee_div_zero 0
		.amdhsa_exception_fp_ieee_overflow 0
		.amdhsa_exception_fp_ieee_underflow 0
		.amdhsa_exception_fp_ieee_inexact 0
		.amdhsa_exception_int_div_zero 0
	.end_amdhsa_kernel
	.section	.text._ZL20rocblas_trmvn_kernelILi64ELi16ELb0ELb1EPK19rocblas_complex_numIfEPS1_S4_EviT3_lllT4_lllT5_li,"axG",@progbits,_ZL20rocblas_trmvn_kernelILi64ELi16ELb0ELb1EPK19rocblas_complex_numIfEPS1_S4_EviT3_lllT4_lllT5_li,comdat
.Lfunc_end24:
	.size	_ZL20rocblas_trmvn_kernelILi64ELi16ELb0ELb1EPK19rocblas_complex_numIfEPS1_S4_EviT3_lllT4_lllT5_li, .Lfunc_end24-_ZL20rocblas_trmvn_kernelILi64ELi16ELb0ELb1EPK19rocblas_complex_numIfEPS1_S4_EviT3_lllT4_lllT5_li
                                        ; -- End function
	.set _ZL20rocblas_trmvn_kernelILi64ELi16ELb0ELb1EPK19rocblas_complex_numIfEPS1_S4_EviT3_lllT4_lllT5_li.num_vgpr, 16
	.set _ZL20rocblas_trmvn_kernelILi64ELi16ELb0ELb1EPK19rocblas_complex_numIfEPS1_S4_EviT3_lllT4_lllT5_li.num_agpr, 0
	.set _ZL20rocblas_trmvn_kernelILi64ELi16ELb0ELb1EPK19rocblas_complex_numIfEPS1_S4_EviT3_lllT4_lllT5_li.numbered_sgpr, 25
	.set _ZL20rocblas_trmvn_kernelILi64ELi16ELb0ELb1EPK19rocblas_complex_numIfEPS1_S4_EviT3_lllT4_lllT5_li.num_named_barrier, 0
	.set _ZL20rocblas_trmvn_kernelILi64ELi16ELb0ELb1EPK19rocblas_complex_numIfEPS1_S4_EviT3_lllT4_lllT5_li.private_seg_size, 0
	.set _ZL20rocblas_trmvn_kernelILi64ELi16ELb0ELb1EPK19rocblas_complex_numIfEPS1_S4_EviT3_lllT4_lllT5_li.uses_vcc, 1
	.set _ZL20rocblas_trmvn_kernelILi64ELi16ELb0ELb1EPK19rocblas_complex_numIfEPS1_S4_EviT3_lllT4_lllT5_li.uses_flat_scratch, 0
	.set _ZL20rocblas_trmvn_kernelILi64ELi16ELb0ELb1EPK19rocblas_complex_numIfEPS1_S4_EviT3_lllT4_lllT5_li.has_dyn_sized_stack, 0
	.set _ZL20rocblas_trmvn_kernelILi64ELi16ELb0ELb1EPK19rocblas_complex_numIfEPS1_S4_EviT3_lllT4_lllT5_li.has_recursion, 0
	.set _ZL20rocblas_trmvn_kernelILi64ELi16ELb0ELb1EPK19rocblas_complex_numIfEPS1_S4_EviT3_lllT4_lllT5_li.has_indirect_call, 0
	.section	.AMDGPU.csdata,"",@progbits
; Kernel info:
; codeLenInByte = 992
; TotalNumSgprs: 27
; NumVgprs: 16
; ScratchSize: 0
; MemoryBound: 0
; FloatMode: 240
; IeeeMode: 1
; LDSByteSize: 8192 bytes/workgroup (compile time only)
; SGPRBlocks: 0
; VGPRBlocks: 1
; NumSGPRsForWavesPerEU: 27
; NumVGPRsForWavesPerEU: 16
; Occupancy: 16
; WaveLimiterHint : 0
; COMPUTE_PGM_RSRC2:SCRATCH_EN: 0
; COMPUTE_PGM_RSRC2:USER_SGPR: 6
; COMPUTE_PGM_RSRC2:TRAP_HANDLER: 0
; COMPUTE_PGM_RSRC2:TGID_X_EN: 1
; COMPUTE_PGM_RSRC2:TGID_Y_EN: 0
; COMPUTE_PGM_RSRC2:TGID_Z_EN: 1
; COMPUTE_PGM_RSRC2:TIDIG_COMP_CNT: 1
	.section	.text._ZL20rocblas_trmvt_kernelILi512ELb0ELb0ELb1EPK19rocblas_complex_numIfEPS1_S4_EviT3_lllT4_lllT5_li,"axG",@progbits,_ZL20rocblas_trmvt_kernelILi512ELb0ELb0ELb1EPK19rocblas_complex_numIfEPS1_S4_EviT3_lllT4_lllT5_li,comdat
	.globl	_ZL20rocblas_trmvt_kernelILi512ELb0ELb0ELb1EPK19rocblas_complex_numIfEPS1_S4_EviT3_lllT4_lllT5_li ; -- Begin function _ZL20rocblas_trmvt_kernelILi512ELb0ELb0ELb1EPK19rocblas_complex_numIfEPS1_S4_EviT3_lllT4_lllT5_li
	.p2align	8
	.type	_ZL20rocblas_trmvt_kernelILi512ELb0ELb0ELb1EPK19rocblas_complex_numIfEPS1_S4_EviT3_lllT4_lllT5_li,@function
_ZL20rocblas_trmvt_kernelILi512ELb0ELb0ELb1EPK19rocblas_complex_numIfEPS1_S4_EviT3_lllT4_lllT5_li: ; @_ZL20rocblas_trmvt_kernelILi512ELb0ELb0ELb1EPK19rocblas_complex_numIfEPS1_S4_EviT3_lllT4_lllT5_li
; %bb.0:
	s_load_dwordx16 s[8:23], s[4:5], 0x8
	v_mov_b32_e32 v5, 0
	v_mov_b32_e32 v6, 0
	v_cmp_eq_u32_e32 vcc_lo, 0, v0
	s_mov_b32 s0, s7
	s_waitcnt lgkmcnt(0)
	s_mul_i32 s1, s23, s7
	s_mul_hi_u32 s3, s22, s7
	s_mul_i32 s2, s22, s7
	s_add_i32 s3, s3, s1
	s_ashr_i32 s7, s6, 31
	s_and_saveexec_b32 s1, vcc_lo
	s_cbranch_execz .LBB25_2
; %bb.1:
	s_lshl_b64 s[22:23], s[2:3], 3
	s_mul_i32 s26, s20, s7
	s_add_u32 s24, s16, s22
	s_addc_u32 s25, s17, s23
	s_lshl_b64 s[22:23], s[18:19], 3
	s_add_u32 s24, s24, s22
	s_mul_hi_u32 s22, s20, s6
	s_addc_u32 s25, s25, s23
	s_add_i32 s22, s22, s26
	s_mul_i32 s23, s21, s6
	s_add_i32 s23, s22, s23
	s_mul_i32 s22, s20, s6
	s_lshl_b64 s[22:23], s[22:23], 3
	s_add_u32 s22, s24, s22
	s_addc_u32 s23, s25, s23
	s_load_dwordx2 s[22:23], s[22:23], 0x0
	s_waitcnt lgkmcnt(0)
	v_add_f32_e64 v5, s22, 0
	v_add_f32_e64 v6, s23, 0
.LBB25_2:
	s_or_b32 exec_lo, exec_lo, s1
	s_load_dword s23, s[4:5], 0x0
	s_waitcnt lgkmcnt(0)
	v_cmp_gt_i32_e64 s1, s23, v0
	s_and_saveexec_b32 s22, s1
	s_cbranch_execz .LBB25_8
; %bb.3:
	v_mad_u64_u32 v[1:2], null, s20, v0, 0
	s_mul_i32 s15, s15, s0
	s_mul_hi_u32 s24, s14, s0
	s_mul_i32 s14, s14, s0
	s_add_i32 s15, s24, s15
	v_cndmask_b32_e64 v4, 0, v0, s1
	s_lshl_b64 s[14:15], s[14:15], 3
	v_mad_u64_u32 v[2:3], null, s21, v0, v[2:3]
	s_add_u32 s14, s8, s14
	s_addc_u32 s15, s9, s15
	s_lshl_b64 s[8:9], s[10:11], 3
	v_lshlrev_b32_e32 v3, 3, v4
	s_add_u32 s10, s14, s8
	s_mul_i32 s1, s12, s7
	s_mul_hi_u32 s8, s12, s6
	s_addc_u32 s11, s15, s9
	s_add_i32 s1, s8, s1
	s_mul_i32 s8, s13, s6
	v_lshlrev_b64 v[1:2], 3, v[1:2]
	s_add_i32 s9, s1, s8
	v_add_co_u32 v3, s1, s10, v3
	s_mul_i32 s8, s12, s6
	v_add_co_ci_u32_e64 v4, null, s11, 0, s1
	s_lshl_b64 s[10:11], s[18:19], 3
	s_lshl_b64 s[8:9], s[8:9], 3
	s_lshl_b64 s[2:3], s[2:3], 3
	s_add_u32 s1, s16, s10
	s_addc_u32 s10, s17, s11
	s_add_u32 s1, s1, s2
	s_addc_u32 s2, s10, s3
	v_add_co_u32 v7, s1, s1, v1
	v_add_co_ci_u32_e64 v8, null, s2, v2, s1
	v_add_co_u32 v1, s1, v3, s8
	v_add_co_ci_u32_e64 v2, null, s9, v4, s1
	;; [unrolled: 2-line block ×3, first 2 shown]
	v_mov_b32_e32 v7, v0
	s_mov_b32 s3, 0
	s_lshl_b64 s[8:9], s[20:21], 12
	s_inst_prefetch 0x1
	s_branch .LBB25_5
	.p2align	6
.LBB25_4:                               ;   in Loop: Header=BB25_5 Depth=1
	s_or_b32 exec_lo, exec_lo, s2
	v_add_nc_u32_e32 v7, 0x200, v7
	v_add_co_u32 v1, s1, 0x1000, v1
	v_add_co_ci_u32_e64 v2, null, 0, v2, s1
	v_cmp_le_i32_e64 s1, s23, v7
	v_add_co_u32 v3, s2, v3, s8
	v_add_co_ci_u32_e64 v4, null, s9, v4, s2
	s_or_b32 s3, s1, s3
	s_andn2_b32 exec_lo, exec_lo, s3
	s_cbranch_execz .LBB25_7
.LBB25_5:                               ; =>This Inner Loop Header: Depth=1
	s_mov_b32 s2, exec_lo
	v_cmpx_gt_i32_e64 s6, v7
	s_cbranch_execz .LBB25_4
; %bb.6:                                ;   in Loop: Header=BB25_5 Depth=1
	global_load_dwordx2 v[8:9], v[1:2], off
	global_load_dwordx2 v[10:11], v[3:4], off offset:-4
	s_waitcnt vmcnt(0)
	v_mul_f32_e32 v12, v11, v9
	v_mul_f32_e32 v9, v10, v9
	v_fma_f32 v10, v10, v8, -v12
	v_fmac_f32_e32 v9, v11, v8
	v_add_f32_e32 v5, v5, v10
	v_add_f32_e32 v6, v6, v9
	s_branch .LBB25_4
.LBB25_7:
	s_inst_prefetch 0x2
	s_or_b32 exec_lo, exec_lo, s3
.LBB25_8:
	s_or_b32 exec_lo, exec_lo, s22
	v_and_b32_e32 v1, 31, v0
	v_cmp_gt_u32_e64 s1, 32, v0
	v_lshlrev_b32_e32 v2, 3, v1
	s_and_saveexec_b32 s2, s1
; %bb.9:
	v_mov_b32_e32 v3, 0
	v_mov_b32_e32 v4, v3
	ds_write_b64 v2, v[3:4]
; %bb.10:
	s_or_b32 exec_lo, exec_lo, s2
	v_mbcnt_lo_u32_b32 v7, -1, 0
	s_mov_b32 s3, exec_lo
	s_waitcnt lgkmcnt(0)
	s_barrier
	buffer_gl0_inv
	v_lshl_or_b32 v3, v7, 2, 64
	v_cmp_gt_u32_e64 s2, 24, v7
	ds_bpermute_b32 v4, v3, v5
	ds_bpermute_b32 v8, v3, v6
	v_cndmask_b32_e64 v3, 0, 8, s2
	v_cmp_gt_u32_e64 s2, 28, v7
	v_add_lshl_u32 v3, v3, v7, 2
	s_waitcnt lgkmcnt(1)
	v_add_f32_e32 v5, v5, v4
	s_waitcnt lgkmcnt(0)
	v_add_f32_e32 v6, v6, v8
	v_cndmask_b32_e64 v4, 0, 4, s2
	v_cmp_gt_u32_e64 s2, 30, v7
	ds_bpermute_b32 v8, v3, v5
	ds_bpermute_b32 v9, v3, v6
	v_add_lshl_u32 v4, v4, v7, 2
	s_waitcnt lgkmcnt(1)
	v_add_f32_e32 v8, v5, v8
	s_waitcnt lgkmcnt(0)
	v_add_f32_e32 v6, v6, v9
	v_cndmask_b32_e64 v5, 0, 2, s2
	v_cmp_ne_u32_e64 s2, 31, v7
	ds_bpermute_b32 v9, v4, v8
	ds_bpermute_b32 v10, v4, v6
	v_add_lshl_u32 v5, v5, v7, 2
	s_waitcnt lgkmcnt(1)
	v_add_f32_e32 v8, v8, v9
	s_waitcnt lgkmcnt(0)
	v_add_f32_e32 v9, v6, v10
	v_add_co_ci_u32_e64 v6, null, 0, v7, s2
	ds_bpermute_b32 v10, v5, v8
	ds_bpermute_b32 v11, v5, v9
	v_lshlrev_b32_e32 v6, 2, v6
	s_waitcnt lgkmcnt(1)
	v_add_f32_e32 v7, v8, v10
	s_waitcnt lgkmcnt(0)
	v_add_f32_e32 v9, v9, v11
	ds_bpermute_b32 v8, v6, v7
	ds_bpermute_b32 v10, v6, v9
	v_cmpx_eq_u32_e32 0, v1
	s_cbranch_execz .LBB25_12
; %bb.11:
	v_lshrrev_b32_e32 v1, 2, v0
	s_waitcnt lgkmcnt(0)
	v_add_f32_e32 v9, v9, v10
	v_add_f32_e32 v8, v7, v8
	v_and_b32_e32 v1, 0x78, v1
	ds_write_b64 v1, v[8:9]
.LBB25_12:
	s_or_b32 exec_lo, exec_lo, s3
	v_cmp_gt_u32_e64 s2, 16, v0
	v_mov_b32_e32 v1, 0
	v_mov_b32_e32 v0, 0
	s_waitcnt lgkmcnt(0)
	s_barrier
	buffer_gl0_inv
	s_and_saveexec_b32 s3, s2
	s_cbranch_execnz .LBB25_16
; %bb.13:
	s_or_b32 exec_lo, exec_lo, s3
	s_and_saveexec_b32 s2, s1
	s_cbranch_execnz .LBB25_17
.LBB25_14:
	s_or_b32 exec_lo, exec_lo, s2
	s_and_saveexec_b32 s1, vcc_lo
	s_cbranch_execnz .LBB25_18
.LBB25_15:
	s_endpgm
.LBB25_16:
	ds_read_b64 v[0:1], v2
	s_or_b32 exec_lo, exec_lo, s3
	s_and_saveexec_b32 s2, s1
	s_cbranch_execz .LBB25_14
.LBB25_17:
	s_waitcnt lgkmcnt(0)
	ds_bpermute_b32 v2, v3, v0
	ds_bpermute_b32 v3, v3, v1
	s_waitcnt lgkmcnt(1)
	v_add_f32_e32 v0, v0, v2
	s_waitcnt lgkmcnt(0)
	v_add_f32_e32 v1, v1, v3
	ds_bpermute_b32 v2, v4, v0
	ds_bpermute_b32 v3, v4, v1
	s_waitcnt lgkmcnt(1)
	v_add_f32_e32 v0, v0, v2
	s_waitcnt lgkmcnt(0)
	v_add_f32_e32 v1, v1, v3
	;; [unrolled: 6-line block ×4, first 2 shown]
	s_or_b32 exec_lo, exec_lo, s2
	s_and_saveexec_b32 s1, vcc_lo
	s_cbranch_execz .LBB25_15
.LBB25_18:
	s_load_dwordx4 s[8:11], s[4:5], 0x48
	v_mov_b32_e32 v2, 0
	s_waitcnt lgkmcnt(0)
	s_mul_i32 s1, s11, s0
	s_mul_hi_u32 s2, s10, s0
	s_mul_i32 s0, s10, s0
	s_add_i32 s1, s2, s1
	s_lshl_b64 s[0:1], s[0:1], 3
	s_add_u32 s2, s8, s0
	s_addc_u32 s3, s9, s1
	s_lshl_b64 s[0:1], s[6:7], 3
	s_add_u32 s0, s2, s0
	s_addc_u32 s1, s3, s1
	global_store_dwordx2 v2, v[0:1], s[0:1]
	s_endpgm
	.section	.rodata,"a",@progbits
	.p2align	6, 0x0
	.amdhsa_kernel _ZL20rocblas_trmvt_kernelILi512ELb0ELb0ELb1EPK19rocblas_complex_numIfEPS1_S4_EviT3_lllT4_lllT5_li
		.amdhsa_group_segment_fixed_size 256
		.amdhsa_private_segment_fixed_size 0
		.amdhsa_kernarg_size 92
		.amdhsa_user_sgpr_count 6
		.amdhsa_user_sgpr_private_segment_buffer 1
		.amdhsa_user_sgpr_dispatch_ptr 0
		.amdhsa_user_sgpr_queue_ptr 0
		.amdhsa_user_sgpr_kernarg_segment_ptr 1
		.amdhsa_user_sgpr_dispatch_id 0
		.amdhsa_user_sgpr_flat_scratch_init 0
		.amdhsa_user_sgpr_private_segment_size 0
		.amdhsa_wavefront_size32 1
		.amdhsa_uses_dynamic_stack 0
		.amdhsa_system_sgpr_private_segment_wavefront_offset 0
		.amdhsa_system_sgpr_workgroup_id_x 1
		.amdhsa_system_sgpr_workgroup_id_y 0
		.amdhsa_system_sgpr_workgroup_id_z 1
		.amdhsa_system_sgpr_workgroup_info 0
		.amdhsa_system_vgpr_workitem_id 0
		.amdhsa_next_free_vgpr 13
		.amdhsa_next_free_sgpr 27
		.amdhsa_reserve_vcc 1
		.amdhsa_reserve_flat_scratch 0
		.amdhsa_float_round_mode_32 0
		.amdhsa_float_round_mode_16_64 0
		.amdhsa_float_denorm_mode_32 3
		.amdhsa_float_denorm_mode_16_64 3
		.amdhsa_dx10_clamp 1
		.amdhsa_ieee_mode 1
		.amdhsa_fp16_overflow 0
		.amdhsa_workgroup_processor_mode 1
		.amdhsa_memory_ordered 1
		.amdhsa_forward_progress 1
		.amdhsa_shared_vgpr_count 0
		.amdhsa_exception_fp_ieee_invalid_op 0
		.amdhsa_exception_fp_denorm_src 0
		.amdhsa_exception_fp_ieee_div_zero 0
		.amdhsa_exception_fp_ieee_overflow 0
		.amdhsa_exception_fp_ieee_underflow 0
		.amdhsa_exception_fp_ieee_inexact 0
		.amdhsa_exception_int_div_zero 0
	.end_amdhsa_kernel
	.section	.text._ZL20rocblas_trmvt_kernelILi512ELb0ELb0ELb1EPK19rocblas_complex_numIfEPS1_S4_EviT3_lllT4_lllT5_li,"axG",@progbits,_ZL20rocblas_trmvt_kernelILi512ELb0ELb0ELb1EPK19rocblas_complex_numIfEPS1_S4_EviT3_lllT4_lllT5_li,comdat
.Lfunc_end25:
	.size	_ZL20rocblas_trmvt_kernelILi512ELb0ELb0ELb1EPK19rocblas_complex_numIfEPS1_S4_EviT3_lllT4_lllT5_li, .Lfunc_end25-_ZL20rocblas_trmvt_kernelILi512ELb0ELb0ELb1EPK19rocblas_complex_numIfEPS1_S4_EviT3_lllT4_lllT5_li
                                        ; -- End function
	.set _ZL20rocblas_trmvt_kernelILi512ELb0ELb0ELb1EPK19rocblas_complex_numIfEPS1_S4_EviT3_lllT4_lllT5_li.num_vgpr, 13
	.set _ZL20rocblas_trmvt_kernelILi512ELb0ELb0ELb1EPK19rocblas_complex_numIfEPS1_S4_EviT3_lllT4_lllT5_li.num_agpr, 0
	.set _ZL20rocblas_trmvt_kernelILi512ELb0ELb0ELb1EPK19rocblas_complex_numIfEPS1_S4_EviT3_lllT4_lllT5_li.numbered_sgpr, 27
	.set _ZL20rocblas_trmvt_kernelILi512ELb0ELb0ELb1EPK19rocblas_complex_numIfEPS1_S4_EviT3_lllT4_lllT5_li.num_named_barrier, 0
	.set _ZL20rocblas_trmvt_kernelILi512ELb0ELb0ELb1EPK19rocblas_complex_numIfEPS1_S4_EviT3_lllT4_lllT5_li.private_seg_size, 0
	.set _ZL20rocblas_trmvt_kernelILi512ELb0ELb0ELb1EPK19rocblas_complex_numIfEPS1_S4_EviT3_lllT4_lllT5_li.uses_vcc, 1
	.set _ZL20rocblas_trmvt_kernelILi512ELb0ELb0ELb1EPK19rocblas_complex_numIfEPS1_S4_EviT3_lllT4_lllT5_li.uses_flat_scratch, 0
	.set _ZL20rocblas_trmvt_kernelILi512ELb0ELb0ELb1EPK19rocblas_complex_numIfEPS1_S4_EviT3_lllT4_lllT5_li.has_dyn_sized_stack, 0
	.set _ZL20rocblas_trmvt_kernelILi512ELb0ELb0ELb1EPK19rocblas_complex_numIfEPS1_S4_EviT3_lllT4_lllT5_li.has_recursion, 0
	.set _ZL20rocblas_trmvt_kernelILi512ELb0ELb0ELb1EPK19rocblas_complex_numIfEPS1_S4_EviT3_lllT4_lllT5_li.has_indirect_call, 0
	.section	.AMDGPU.csdata,"",@progbits
; Kernel info:
; codeLenInByte = 1252
; TotalNumSgprs: 29
; NumVgprs: 13
; ScratchSize: 0
; MemoryBound: 0
; FloatMode: 240
; IeeeMode: 1
; LDSByteSize: 256 bytes/workgroup (compile time only)
; SGPRBlocks: 0
; VGPRBlocks: 1
; NumSGPRsForWavesPerEU: 29
; NumVGPRsForWavesPerEU: 13
; Occupancy: 16
; WaveLimiterHint : 0
; COMPUTE_PGM_RSRC2:SCRATCH_EN: 0
; COMPUTE_PGM_RSRC2:USER_SGPR: 6
; COMPUTE_PGM_RSRC2:TRAP_HANDLER: 0
; COMPUTE_PGM_RSRC2:TGID_X_EN: 1
; COMPUTE_PGM_RSRC2:TGID_Y_EN: 0
; COMPUTE_PGM_RSRC2:TGID_Z_EN: 1
; COMPUTE_PGM_RSRC2:TIDIG_COMP_CNT: 0
	.section	.text._ZL20rocblas_trmvt_kernelILi512ELb0ELb1ELb1EPK19rocblas_complex_numIfEPS1_S4_EviT3_lllT4_lllT5_li,"axG",@progbits,_ZL20rocblas_trmvt_kernelILi512ELb0ELb1ELb1EPK19rocblas_complex_numIfEPS1_S4_EviT3_lllT4_lllT5_li,comdat
	.globl	_ZL20rocblas_trmvt_kernelILi512ELb0ELb1ELb1EPK19rocblas_complex_numIfEPS1_S4_EviT3_lllT4_lllT5_li ; -- Begin function _ZL20rocblas_trmvt_kernelILi512ELb0ELb1ELb1EPK19rocblas_complex_numIfEPS1_S4_EviT3_lllT4_lllT5_li
	.p2align	8
	.type	_ZL20rocblas_trmvt_kernelILi512ELb0ELb1ELb1EPK19rocblas_complex_numIfEPS1_S4_EviT3_lllT4_lllT5_li,@function
_ZL20rocblas_trmvt_kernelILi512ELb0ELb1ELb1EPK19rocblas_complex_numIfEPS1_S4_EviT3_lllT4_lllT5_li: ; @_ZL20rocblas_trmvt_kernelILi512ELb0ELb1ELb1EPK19rocblas_complex_numIfEPS1_S4_EviT3_lllT4_lllT5_li
; %bb.0:
	s_load_dwordx16 s[8:23], s[4:5], 0x8
	v_mov_b32_e32 v5, 0
	v_mov_b32_e32 v6, 0
	v_cmp_eq_u32_e32 vcc_lo, 0, v0
	s_mov_b32 s0, s7
	s_waitcnt lgkmcnt(0)
	s_mul_i32 s1, s23, s7
	s_mul_hi_u32 s3, s22, s7
	s_mul_i32 s2, s22, s7
	s_add_i32 s3, s3, s1
	s_ashr_i32 s7, s6, 31
	s_and_saveexec_b32 s1, vcc_lo
	s_cbranch_execz .LBB26_2
; %bb.1:
	s_lshl_b64 s[22:23], s[2:3], 3
	s_mul_i32 s26, s20, s7
	s_add_u32 s24, s16, s22
	s_addc_u32 s25, s17, s23
	s_lshl_b64 s[22:23], s[18:19], 3
	s_add_u32 s24, s24, s22
	s_mul_hi_u32 s22, s20, s6
	s_addc_u32 s25, s25, s23
	s_add_i32 s22, s22, s26
	s_mul_i32 s23, s21, s6
	s_add_i32 s23, s22, s23
	s_mul_i32 s22, s20, s6
	s_lshl_b64 s[22:23], s[22:23], 3
	s_add_u32 s22, s24, s22
	s_addc_u32 s23, s25, s23
	s_load_dwordx2 s[22:23], s[22:23], 0x0
	s_waitcnt lgkmcnt(0)
	v_add_f32_e64 v5, s22, 0
	v_add_f32_e64 v6, s23, 0
.LBB26_2:
	s_or_b32 exec_lo, exec_lo, s1
	s_load_dword s23, s[4:5], 0x0
	s_waitcnt lgkmcnt(0)
	v_cmp_gt_i32_e64 s1, s23, v0
	s_and_saveexec_b32 s22, s1
	s_cbranch_execz .LBB26_8
; %bb.3:
	v_mad_u64_u32 v[1:2], null, s20, v0, 0
	s_lshl_b64 s[18:19], s[18:19], 3
	s_lshl_b64 s[2:3], s[2:3], 3
	s_add_u32 s16, s16, s18
	v_cndmask_b32_e64 v4, 0, v0, s1
	s_mul_i32 s1, s12, s7
	s_mul_hi_u32 s24, s12, s6
	v_mad_u64_u32 v[2:3], null, s21, v0, v[2:3]
	s_addc_u32 s17, s17, s19
	s_add_u32 s16, s16, s2
	s_mul_i32 s13, s13, s6
	s_mul_i32 s15, s15, s0
	s_mul_hi_u32 s25, s14, s0
	s_addc_u32 s17, s17, s3
	s_add_i32 s1, s24, s1
	v_lshlrev_b64 v[1:2], 3, v[1:2]
	s_mul_i32 s12, s12, s6
	s_mul_i32 s14, s14, s0
	s_add_i32 s15, s25, s15
	s_add_i32 s13, s1, s13
	s_lshl_b64 s[2:3], s[14:15], 3
	s_lshl_b64 s[14:15], s[12:13], 3
	;; [unrolled: 1-line block ×3, first 2 shown]
	s_add_u32 s14, s14, s2
	s_addc_u32 s15, s15, s3
	s_lshl_b64 s[2:3], s[10:11], 3
	v_add_co_u32 v1, s1, s16, v1
	v_lshlrev_b32_e32 v3, 3, v4
	v_add_co_ci_u32_e64 v2, null, s17, v2, s1
	s_add_u32 s1, s14, s2
	s_addc_u32 s2, s15, s3
	s_add_u32 s1, s8, s1
	s_addc_u32 s2, s9, s2
	v_add_co_u32 v3, s1, s1, v3
	v_add_co_ci_u32_e64 v4, null, s2, 0, s1
	v_add_co_u32 v1, s1, v1, 4
	v_add_co_ci_u32_e64 v2, null, 0, v2, s1
	;; [unrolled: 2-line block ×3, first 2 shown]
	v_mov_b32_e32 v7, v0
	s_mov_b32 s3, 0
	s_inst_prefetch 0x1
	s_branch .LBB26_5
	.p2align	6
.LBB26_4:                               ;   in Loop: Header=BB26_5 Depth=1
	s_or_b32 exec_lo, exec_lo, s2
	v_add_nc_u32_e32 v7, 0x200, v7
	v_add_co_u32 v1, s1, v1, s12
	v_add_co_ci_u32_e64 v2, null, s13, v2, s1
	v_cmp_le_i32_e64 s1, s23, v7
	v_add_co_u32 v3, s2, 0x1000, v3
	v_add_co_ci_u32_e64 v4, null, 0, v4, s2
	s_or_b32 s3, s1, s3
	s_andn2_b32 exec_lo, exec_lo, s3
	s_cbranch_execz .LBB26_7
.LBB26_5:                               ; =>This Inner Loop Header: Depth=1
	s_mov_b32 s2, exec_lo
	v_cmpx_gt_i32_e64 s6, v7
	s_cbranch_execz .LBB26_4
; %bb.6:                                ;   in Loop: Header=BB26_5 Depth=1
	global_load_dwordx2 v[8:9], v[3:4], off offset:-4
	global_load_dwordx2 v[10:11], v[1:2], off offset:-4
	s_waitcnt vmcnt(0)
	v_mul_f32_e32 v12, v9, v11
	v_mul_f32_e32 v9, v9, v10
	v_fmac_f32_e32 v12, v8, v10
	v_fma_f32 v8, v8, v11, -v9
	v_add_f32_e32 v5, v5, v12
	v_add_f32_e32 v6, v6, v8
	s_branch .LBB26_4
.LBB26_7:
	s_inst_prefetch 0x2
	s_or_b32 exec_lo, exec_lo, s3
.LBB26_8:
	s_or_b32 exec_lo, exec_lo, s22
	v_and_b32_e32 v1, 31, v0
	v_cmp_gt_u32_e64 s1, 32, v0
	v_lshlrev_b32_e32 v2, 3, v1
	s_and_saveexec_b32 s2, s1
; %bb.9:
	v_mov_b32_e32 v3, 0
	v_mov_b32_e32 v4, v3
	ds_write_b64 v2, v[3:4]
; %bb.10:
	s_or_b32 exec_lo, exec_lo, s2
	v_mbcnt_lo_u32_b32 v7, -1, 0
	s_mov_b32 s3, exec_lo
	s_waitcnt lgkmcnt(0)
	s_barrier
	buffer_gl0_inv
	v_lshl_or_b32 v3, v7, 2, 64
	v_cmp_gt_u32_e64 s2, 24, v7
	ds_bpermute_b32 v4, v3, v5
	ds_bpermute_b32 v8, v3, v6
	v_cndmask_b32_e64 v3, 0, 8, s2
	v_cmp_gt_u32_e64 s2, 28, v7
	v_add_lshl_u32 v3, v3, v7, 2
	s_waitcnt lgkmcnt(1)
	v_add_f32_e32 v5, v5, v4
	s_waitcnt lgkmcnt(0)
	v_add_f32_e32 v6, v6, v8
	v_cndmask_b32_e64 v4, 0, 4, s2
	v_cmp_gt_u32_e64 s2, 30, v7
	ds_bpermute_b32 v8, v3, v5
	ds_bpermute_b32 v9, v3, v6
	v_add_lshl_u32 v4, v4, v7, 2
	s_waitcnt lgkmcnt(1)
	v_add_f32_e32 v8, v5, v8
	s_waitcnt lgkmcnt(0)
	v_add_f32_e32 v6, v6, v9
	v_cndmask_b32_e64 v5, 0, 2, s2
	v_cmp_ne_u32_e64 s2, 31, v7
	ds_bpermute_b32 v9, v4, v8
	ds_bpermute_b32 v10, v4, v6
	v_add_lshl_u32 v5, v5, v7, 2
	s_waitcnt lgkmcnt(1)
	v_add_f32_e32 v8, v8, v9
	s_waitcnt lgkmcnt(0)
	v_add_f32_e32 v9, v6, v10
	v_add_co_ci_u32_e64 v6, null, 0, v7, s2
	ds_bpermute_b32 v10, v5, v8
	ds_bpermute_b32 v11, v5, v9
	v_lshlrev_b32_e32 v6, 2, v6
	s_waitcnt lgkmcnt(1)
	v_add_f32_e32 v7, v8, v10
	s_waitcnt lgkmcnt(0)
	v_add_f32_e32 v9, v9, v11
	ds_bpermute_b32 v8, v6, v7
	ds_bpermute_b32 v10, v6, v9
	v_cmpx_eq_u32_e32 0, v1
	s_cbranch_execz .LBB26_12
; %bb.11:
	v_lshrrev_b32_e32 v1, 2, v0
	s_waitcnt lgkmcnt(0)
	v_add_f32_e32 v9, v9, v10
	v_add_f32_e32 v8, v7, v8
	v_and_b32_e32 v1, 0x78, v1
	ds_write_b64 v1, v[8:9]
.LBB26_12:
	s_or_b32 exec_lo, exec_lo, s3
	v_cmp_gt_u32_e64 s2, 16, v0
	v_mov_b32_e32 v1, 0
	v_mov_b32_e32 v0, 0
	s_waitcnt lgkmcnt(0)
	s_barrier
	buffer_gl0_inv
	s_and_saveexec_b32 s3, s2
	s_cbranch_execnz .LBB26_16
; %bb.13:
	s_or_b32 exec_lo, exec_lo, s3
	s_and_saveexec_b32 s2, s1
	s_cbranch_execnz .LBB26_17
.LBB26_14:
	s_or_b32 exec_lo, exec_lo, s2
	s_and_saveexec_b32 s1, vcc_lo
	s_cbranch_execnz .LBB26_18
.LBB26_15:
	s_endpgm
.LBB26_16:
	ds_read_b64 v[0:1], v2
	s_or_b32 exec_lo, exec_lo, s3
	s_and_saveexec_b32 s2, s1
	s_cbranch_execz .LBB26_14
.LBB26_17:
	s_waitcnt lgkmcnt(0)
	ds_bpermute_b32 v2, v3, v0
	ds_bpermute_b32 v3, v3, v1
	s_waitcnt lgkmcnt(1)
	v_add_f32_e32 v0, v0, v2
	s_waitcnt lgkmcnt(0)
	v_add_f32_e32 v1, v1, v3
	ds_bpermute_b32 v2, v4, v0
	ds_bpermute_b32 v3, v4, v1
	s_waitcnt lgkmcnt(1)
	v_add_f32_e32 v0, v0, v2
	s_waitcnt lgkmcnt(0)
	v_add_f32_e32 v1, v1, v3
	;; [unrolled: 6-line block ×4, first 2 shown]
	s_or_b32 exec_lo, exec_lo, s2
	s_and_saveexec_b32 s1, vcc_lo
	s_cbranch_execz .LBB26_15
.LBB26_18:
	s_load_dwordx4 s[8:11], s[4:5], 0x48
	v_mov_b32_e32 v2, 0
	s_waitcnt lgkmcnt(0)
	s_mul_i32 s1, s11, s0
	s_mul_hi_u32 s2, s10, s0
	s_mul_i32 s0, s10, s0
	s_add_i32 s1, s2, s1
	s_lshl_b64 s[0:1], s[0:1], 3
	s_add_u32 s2, s8, s0
	s_addc_u32 s3, s9, s1
	s_lshl_b64 s[0:1], s[6:7], 3
	s_add_u32 s0, s2, s0
	s_addc_u32 s1, s3, s1
	global_store_dwordx2 v2, v[0:1], s[0:1]
	s_endpgm
	.section	.rodata,"a",@progbits
	.p2align	6, 0x0
	.amdhsa_kernel _ZL20rocblas_trmvt_kernelILi512ELb0ELb1ELb1EPK19rocblas_complex_numIfEPS1_S4_EviT3_lllT4_lllT5_li
		.amdhsa_group_segment_fixed_size 256
		.amdhsa_private_segment_fixed_size 0
		.amdhsa_kernarg_size 92
		.amdhsa_user_sgpr_count 6
		.amdhsa_user_sgpr_private_segment_buffer 1
		.amdhsa_user_sgpr_dispatch_ptr 0
		.amdhsa_user_sgpr_queue_ptr 0
		.amdhsa_user_sgpr_kernarg_segment_ptr 1
		.amdhsa_user_sgpr_dispatch_id 0
		.amdhsa_user_sgpr_flat_scratch_init 0
		.amdhsa_user_sgpr_private_segment_size 0
		.amdhsa_wavefront_size32 1
		.amdhsa_uses_dynamic_stack 0
		.amdhsa_system_sgpr_private_segment_wavefront_offset 0
		.amdhsa_system_sgpr_workgroup_id_x 1
		.amdhsa_system_sgpr_workgroup_id_y 0
		.amdhsa_system_sgpr_workgroup_id_z 1
		.amdhsa_system_sgpr_workgroup_info 0
		.amdhsa_system_vgpr_workitem_id 0
		.amdhsa_next_free_vgpr 13
		.amdhsa_next_free_sgpr 27
		.amdhsa_reserve_vcc 1
		.amdhsa_reserve_flat_scratch 0
		.amdhsa_float_round_mode_32 0
		.amdhsa_float_round_mode_16_64 0
		.amdhsa_float_denorm_mode_32 3
		.amdhsa_float_denorm_mode_16_64 3
		.amdhsa_dx10_clamp 1
		.amdhsa_ieee_mode 1
		.amdhsa_fp16_overflow 0
		.amdhsa_workgroup_processor_mode 1
		.amdhsa_memory_ordered 1
		.amdhsa_forward_progress 1
		.amdhsa_shared_vgpr_count 0
		.amdhsa_exception_fp_ieee_invalid_op 0
		.amdhsa_exception_fp_denorm_src 0
		.amdhsa_exception_fp_ieee_div_zero 0
		.amdhsa_exception_fp_ieee_overflow 0
		.amdhsa_exception_fp_ieee_underflow 0
		.amdhsa_exception_fp_ieee_inexact 0
		.amdhsa_exception_int_div_zero 0
	.end_amdhsa_kernel
	.section	.text._ZL20rocblas_trmvt_kernelILi512ELb0ELb1ELb1EPK19rocblas_complex_numIfEPS1_S4_EviT3_lllT4_lllT5_li,"axG",@progbits,_ZL20rocblas_trmvt_kernelILi512ELb0ELb1ELb1EPK19rocblas_complex_numIfEPS1_S4_EviT3_lllT4_lllT5_li,comdat
.Lfunc_end26:
	.size	_ZL20rocblas_trmvt_kernelILi512ELb0ELb1ELb1EPK19rocblas_complex_numIfEPS1_S4_EviT3_lllT4_lllT5_li, .Lfunc_end26-_ZL20rocblas_trmvt_kernelILi512ELb0ELb1ELb1EPK19rocblas_complex_numIfEPS1_S4_EviT3_lllT4_lllT5_li
                                        ; -- End function
	.set _ZL20rocblas_trmvt_kernelILi512ELb0ELb1ELb1EPK19rocblas_complex_numIfEPS1_S4_EviT3_lllT4_lllT5_li.num_vgpr, 13
	.set _ZL20rocblas_trmvt_kernelILi512ELb0ELb1ELb1EPK19rocblas_complex_numIfEPS1_S4_EviT3_lllT4_lllT5_li.num_agpr, 0
	.set _ZL20rocblas_trmvt_kernelILi512ELb0ELb1ELb1EPK19rocblas_complex_numIfEPS1_S4_EviT3_lllT4_lllT5_li.numbered_sgpr, 27
	.set _ZL20rocblas_trmvt_kernelILi512ELb0ELb1ELb1EPK19rocblas_complex_numIfEPS1_S4_EviT3_lllT4_lllT5_li.num_named_barrier, 0
	.set _ZL20rocblas_trmvt_kernelILi512ELb0ELb1ELb1EPK19rocblas_complex_numIfEPS1_S4_EviT3_lllT4_lllT5_li.private_seg_size, 0
	.set _ZL20rocblas_trmvt_kernelILi512ELb0ELb1ELb1EPK19rocblas_complex_numIfEPS1_S4_EviT3_lllT4_lllT5_li.uses_vcc, 1
	.set _ZL20rocblas_trmvt_kernelILi512ELb0ELb1ELb1EPK19rocblas_complex_numIfEPS1_S4_EviT3_lllT4_lllT5_li.uses_flat_scratch, 0
	.set _ZL20rocblas_trmvt_kernelILi512ELb0ELb1ELb1EPK19rocblas_complex_numIfEPS1_S4_EviT3_lllT4_lllT5_li.has_dyn_sized_stack, 0
	.set _ZL20rocblas_trmvt_kernelILi512ELb0ELb1ELb1EPK19rocblas_complex_numIfEPS1_S4_EviT3_lllT4_lllT5_li.has_recursion, 0
	.set _ZL20rocblas_trmvt_kernelILi512ELb0ELb1ELb1EPK19rocblas_complex_numIfEPS1_S4_EviT3_lllT4_lllT5_li.has_indirect_call, 0
	.section	.AMDGPU.csdata,"",@progbits
; Kernel info:
; codeLenInByte = 1252
; TotalNumSgprs: 29
; NumVgprs: 13
; ScratchSize: 0
; MemoryBound: 0
; FloatMode: 240
; IeeeMode: 1
; LDSByteSize: 256 bytes/workgroup (compile time only)
; SGPRBlocks: 0
; VGPRBlocks: 1
; NumSGPRsForWavesPerEU: 29
; NumVGPRsForWavesPerEU: 13
; Occupancy: 16
; WaveLimiterHint : 0
; COMPUTE_PGM_RSRC2:SCRATCH_EN: 0
; COMPUTE_PGM_RSRC2:USER_SGPR: 6
; COMPUTE_PGM_RSRC2:TRAP_HANDLER: 0
; COMPUTE_PGM_RSRC2:TGID_X_EN: 1
; COMPUTE_PGM_RSRC2:TGID_Y_EN: 0
; COMPUTE_PGM_RSRC2:TGID_Z_EN: 1
; COMPUTE_PGM_RSRC2:TIDIG_COMP_CNT: 0
	.section	.text._ZL20rocblas_trmvn_kernelILi64ELi16ELb0ELb0EPK19rocblas_complex_numIfEPS1_S4_EviT3_lllT4_lllT5_li,"axG",@progbits,_ZL20rocblas_trmvn_kernelILi64ELi16ELb0ELb0EPK19rocblas_complex_numIfEPS1_S4_EviT3_lllT4_lllT5_li,comdat
	.globl	_ZL20rocblas_trmvn_kernelILi64ELi16ELb0ELb0EPK19rocblas_complex_numIfEPS1_S4_EviT3_lllT4_lllT5_li ; -- Begin function _ZL20rocblas_trmvn_kernelILi64ELi16ELb0ELb0EPK19rocblas_complex_numIfEPS1_S4_EviT3_lllT4_lllT5_li
	.p2align	8
	.type	_ZL20rocblas_trmvn_kernelILi64ELi16ELb0ELb0EPK19rocblas_complex_numIfEPS1_S4_EviT3_lllT4_lllT5_li,@function
_ZL20rocblas_trmvn_kernelILi64ELi16ELb0ELb0EPK19rocblas_complex_numIfEPS1_S4_EviT3_lllT4_lllT5_li: ; @_ZL20rocblas_trmvn_kernelILi64ELi16ELb0ELb0EPK19rocblas_complex_numIfEPS1_S4_EviT3_lllT4_lllT5_li
; %bb.0:
	s_clause 0x1
	s_load_dwordx16 s[8:23], s[4:5], 0x8
	s_load_dword s24, s[4:5], 0x0
	v_lshl_add_u32 v2, s6, 6, v0
	v_mov_b32_e32 v4, 0
	v_cmp_eq_u32_e64 s0, 0, v1
	v_mov_b32_e32 v5, v4
	s_waitcnt lgkmcnt(0)
	s_mul_i32 s1, s15, s7
	v_cmp_gt_i32_e32 vcc_lo, s24, v2
	s_mul_hi_u32 s3, s14, s7
	s_mul_i32 s2, s14, s7
	s_mul_i32 s6, s23, s7
	s_mul_hi_u32 s14, s22, s7
	s_add_i32 s3, s3, s1
	s_add_i32 s15, s14, s6
	s_mul_i32 s14, s22, s7
	s_and_b32 s0, s0, vcc_lo
	s_and_saveexec_b32 s1, s0
	s_cbranch_execz .LBB27_2
; %bb.1:
	v_ashrrev_i32_e32 v3, 31, v2
	v_mul_lo_u32 v8, v2, s13
	v_mul_lo_u32 v10, s21, v2
	v_mad_u64_u32 v[6:7], null, s20, v2, 0
	v_mul_lo_u32 v9, v3, s12
	v_mad_u64_u32 v[4:5], null, v2, s12, v[2:3]
	v_mul_lo_u32 v3, s20, v3
	s_lshl_b64 s[22:23], s[2:3], 3
	s_add_u32 s0, s8, s22
	s_addc_u32 s6, s9, s23
	s_lshl_b64 s[22:23], s[10:11], 3
	v_add3_u32 v5, v9, v5, v8
	s_add_u32 s0, s0, s22
	v_add3_u32 v7, v7, v3, v10
	s_addc_u32 s6, s6, s23
	s_lshl_b64 s[22:23], s[14:15], 3
	v_lshlrev_b64 v[3:4], 3, v[4:5]
	s_add_u32 s25, s16, s22
	v_lshlrev_b64 v[5:6], 3, v[6:7]
	s_addc_u32 s26, s17, s23
	s_lshl_b64 s[22:23], s[18:19], 3
	s_add_u32 s22, s25, s22
	v_add_co_u32 v3, s0, s0, v3
	s_addc_u32 s23, s26, s23
	v_add_co_ci_u32_e64 v4, null, s6, v4, s0
	v_add_co_u32 v5, s0, s22, v5
	v_add_co_ci_u32_e64 v6, null, s23, v6, s0
	global_load_dwordx2 v[3:4], v[3:4], off
	global_load_dwordx2 v[6:7], v[5:6], off
	s_waitcnt vmcnt(0)
	v_mul_f32_e32 v8, v7, v4
	v_mul_f32_e32 v5, v6, v4
	v_fma_f32 v4, v6, v3, -v8
	v_fmac_f32_e32 v5, v7, v3
.LBB27_2:
	s_or_b32 exec_lo, exec_lo, s1
	s_load_dword s6, s[4:5], 0x6c
	s_mov_b32 s22, exec_lo
	v_cmpx_gt_i32_e64 s24, v1
	s_cbranch_execz .LBB27_8
; %bb.3:
	v_mad_u64_u32 v[6:7], null, s12, v1, 0
	v_mad_u64_u32 v[8:9], null, s20, v1, 0
	s_lshl_b64 s[0:1], s[18:19], 3
	s_lshl_b64 s[14:15], s[14:15], 3
	s_add_u32 s0, s16, s0
	v_ashrrev_i32_e32 v3, 31, v2
	s_addc_u32 s1, s17, s1
	s_add_u32 s16, s0, s14
	v_mad_u64_u32 v[10:11], null, s13, v1, v[7:8]
	s_addc_u32 s17, s1, s15
	s_lshl_b64 s[0:1], s[2:3], 3
	s_lshl_b64 s[2:3], s[10:11], 3
	;; [unrolled: 1-line block ×3, first 2 shown]
	s_add_u32 s0, s2, s0
	s_addc_u32 s1, s3, s1
	v_mad_u64_u32 v[11:12], null, s21, v1, v[9:10]
	v_mov_b32_e32 v7, v10
	s_lshl_b64 s[2:3], s[12:13], 7
	v_lshlrev_b64 v[6:7], 3, v[6:7]
	v_mov_b32_e32 v9, v11
	v_lshlrev_b64 v[10:11], 3, v[2:3]
	v_add_co_u32 v3, s0, s0, v6
	v_lshlrev_b64 v[8:9], 3, v[8:9]
	v_add_co_ci_u32_e64 v6, null, s1, v7, s0
	v_add_co_u32 v7, s0, s16, v8
	v_add_co_ci_u32_e64 v8, null, s17, v9, s0
	v_add_co_u32 v3, s0, v3, v10
	;; [unrolled: 2-line block ×4, first 2 shown]
	v_add_co_ci_u32_e64 v9, null, s9, v9, s0
	v_mov_b32_e32 v3, v1
	s_mov_b32 s8, 0
	s_inst_prefetch 0x1
	s_branch .LBB27_5
	.p2align	6
.LBB27_4:                               ;   in Loop: Header=BB27_5 Depth=1
	s_or_b32 exec_lo, exec_lo, s1
	v_add_nc_u32_e32 v3, 16, v3
	v_add_co_u32 v6, s0, v6, s14
	v_add_co_ci_u32_e64 v7, null, s15, v7, s0
	v_cmp_le_i32_e64 s0, s24, v3
	v_add_co_u32 v8, s1, v8, s2
	v_add_co_ci_u32_e64 v9, null, s3, v9, s1
	s_or_b32 s8, s0, s8
	s_andn2_b32 exec_lo, exec_lo, s8
	s_cbranch_execz .LBB27_7
.LBB27_5:                               ; =>This Inner Loop Header: Depth=1
	s_mov_b32 s1, exec_lo
	v_cmpx_gt_i32_e64 v3, v2
	s_cbranch_execz .LBB27_4
; %bb.6:                                ;   in Loop: Header=BB27_5 Depth=1
	global_load_dwordx2 v[10:11], v[8:9], off
	global_load_dwordx2 v[12:13], v[6:7], off offset:-4
	s_waitcnt vmcnt(0)
	v_mul_f32_e32 v14, v13, v11
	v_mul_f32_e32 v11, v12, v11
	v_fma_f32 v12, v12, v10, -v14
	v_fmac_f32_e32 v11, v13, v10
	v_add_f32_e32 v4, v4, v12
	v_add_f32_e32 v5, v5, v11
	s_branch .LBB27_4
.LBB27_7:
	s_inst_prefetch 0x2
	s_or_b32 exec_lo, exec_lo, s8
.LBB27_8:
	s_or_b32 exec_lo, exec_lo, s22
	v_lshlrev_b32_e32 v3, 3, v0
	s_waitcnt lgkmcnt(0)
	s_and_b32 s1, 0xffff, s6
	s_mov_b32 s2, exec_lo
	v_mad_u32_u24 v0, v1, s1, v0
	v_lshl_add_u32 v6, v1, 9, v3
	ds_write_b64 v6, v[4:5]
	s_waitcnt lgkmcnt(0)
	s_barrier
	buffer_gl0_inv
	v_cmpx_gt_u32_e32 64, v0
	s_cbranch_execz .LBB27_11
; %bb.9:
	v_mul_u32_u24_e32 v0, s1, v1
	v_lshl_add_u32 v0, v0, 3, v3
	ds_read2st64_b64 v[3:6], v0 offset1:1
	ds_read2st64_b64 v[7:10], v0 offset0:2 offset1:3
	ds_read2st64_b64 v[11:14], v0 offset0:4 offset1:5
	s_waitcnt lgkmcnt(2)
	v_add_f32_e32 v1, v3, v5
	v_add_f32_e32 v15, v4, v6
	ds_read2st64_b64 v[3:6], v0 offset0:6 offset1:7
	s_waitcnt lgkmcnt(2)
	v_add_f32_e32 v1, v1, v7
	v_add_f32_e32 v7, v15, v8
	v_add_f32_e32 v1, v1, v9
	v_add_f32_e32 v15, v7, v10
	ds_read2st64_b64 v[7:10], v0 offset0:8 offset1:9
	s_waitcnt lgkmcnt(2)
	v_add_f32_e32 v1, v1, v11
	v_add_f32_e32 v11, v15, v12
	v_add_f32_e32 v1, v1, v13
	v_add_f32_e32 v15, v11, v14
	ds_read2st64_b64 v[11:14], v0 offset0:10 offset1:11
	s_waitcnt lgkmcnt(2)
	v_add_f32_e32 v1, v1, v3
	v_add_f32_e32 v3, v15, v4
	v_add_f32_e32 v1, v1, v5
	v_add_f32_e32 v15, v3, v6
	ds_read2st64_b64 v[3:6], v0 offset0:12 offset1:13
	s_waitcnt lgkmcnt(2)
	v_add_f32_e32 v1, v1, v7
	v_add_f32_e32 v7, v15, v8
	v_add_f32_e32 v1, v1, v9
	v_add_f32_e32 v15, v7, v10
	ds_read2st64_b64 v[7:10], v0 offset0:14 offset1:15
	s_waitcnt lgkmcnt(2)
	v_add_f32_e32 v1, v1, v11
	v_add_f32_e32 v11, v15, v12
	v_add_f32_e32 v1, v1, v13
	v_add_f32_e32 v11, v11, v14
	s_waitcnt lgkmcnt(1)
	v_add_f32_e32 v1, v1, v3
	v_add_f32_e32 v3, v11, v4
	;; [unrolled: 1-line block ×4, first 2 shown]
	s_waitcnt lgkmcnt(0)
	v_add_f32_e32 v1, v1, v7
	v_add_f32_e32 v4, v3, v8
	;; [unrolled: 1-line block ×4, first 2 shown]
	ds_write_b64 v0, v[3:4]
	s_and_b32 exec_lo, exec_lo, vcc_lo
	s_cbranch_execz .LBB27_11
; %bb.10:
	s_load_dwordx4 s[0:3], s[4:5], 0x48
	ds_read_b64 v[0:1], v0
	v_ashrrev_i32_e32 v3, 31, v2
	v_lshlrev_b64 v[2:3], 3, v[2:3]
	s_waitcnt lgkmcnt(0)
	s_mul_i32 s3, s3, s7
	s_mul_hi_u32 s4, s2, s7
	s_mul_i32 s2, s2, s7
	s_add_i32 s3, s4, s3
	s_lshl_b64 s[2:3], s[2:3], 3
	s_add_u32 s0, s0, s2
	s_addc_u32 s1, s1, s3
	v_add_co_u32 v2, vcc_lo, s0, v2
	v_add_co_ci_u32_e64 v3, null, s1, v3, vcc_lo
	global_store_dwordx2 v[2:3], v[0:1], off
.LBB27_11:
	s_endpgm
	.section	.rodata,"a",@progbits
	.p2align	6, 0x0
	.amdhsa_kernel _ZL20rocblas_trmvn_kernelILi64ELi16ELb0ELb0EPK19rocblas_complex_numIfEPS1_S4_EviT3_lllT4_lllT5_li
		.amdhsa_group_segment_fixed_size 8192
		.amdhsa_private_segment_fixed_size 0
		.amdhsa_kernarg_size 352
		.amdhsa_user_sgpr_count 6
		.amdhsa_user_sgpr_private_segment_buffer 1
		.amdhsa_user_sgpr_dispatch_ptr 0
		.amdhsa_user_sgpr_queue_ptr 0
		.amdhsa_user_sgpr_kernarg_segment_ptr 1
		.amdhsa_user_sgpr_dispatch_id 0
		.amdhsa_user_sgpr_flat_scratch_init 0
		.amdhsa_user_sgpr_private_segment_size 0
		.amdhsa_wavefront_size32 1
		.amdhsa_uses_dynamic_stack 0
		.amdhsa_system_sgpr_private_segment_wavefront_offset 0
		.amdhsa_system_sgpr_workgroup_id_x 1
		.amdhsa_system_sgpr_workgroup_id_y 0
		.amdhsa_system_sgpr_workgroup_id_z 1
		.amdhsa_system_sgpr_workgroup_info 0
		.amdhsa_system_vgpr_workitem_id 1
		.amdhsa_next_free_vgpr 16
		.amdhsa_next_free_sgpr 27
		.amdhsa_reserve_vcc 1
		.amdhsa_reserve_flat_scratch 0
		.amdhsa_float_round_mode_32 0
		.amdhsa_float_round_mode_16_64 0
		.amdhsa_float_denorm_mode_32 3
		.amdhsa_float_denorm_mode_16_64 3
		.amdhsa_dx10_clamp 1
		.amdhsa_ieee_mode 1
		.amdhsa_fp16_overflow 0
		.amdhsa_workgroup_processor_mode 1
		.amdhsa_memory_ordered 1
		.amdhsa_forward_progress 1
		.amdhsa_shared_vgpr_count 0
		.amdhsa_exception_fp_ieee_invalid_op 0
		.amdhsa_exception_fp_denorm_src 0
		.amdhsa_exception_fp_ieee_div_zero 0
		.amdhsa_exception_fp_ieee_overflow 0
		.amdhsa_exception_fp_ieee_underflow 0
		.amdhsa_exception_fp_ieee_inexact 0
		.amdhsa_exception_int_div_zero 0
	.end_amdhsa_kernel
	.section	.text._ZL20rocblas_trmvn_kernelILi64ELi16ELb0ELb0EPK19rocblas_complex_numIfEPS1_S4_EviT3_lllT4_lllT5_li,"axG",@progbits,_ZL20rocblas_trmvn_kernelILi64ELi16ELb0ELb0EPK19rocblas_complex_numIfEPS1_S4_EviT3_lllT4_lllT5_li,comdat
.Lfunc_end27:
	.size	_ZL20rocblas_trmvn_kernelILi64ELi16ELb0ELb0EPK19rocblas_complex_numIfEPS1_S4_EviT3_lllT4_lllT5_li, .Lfunc_end27-_ZL20rocblas_trmvn_kernelILi64ELi16ELb0ELb0EPK19rocblas_complex_numIfEPS1_S4_EviT3_lllT4_lllT5_li
                                        ; -- End function
	.set _ZL20rocblas_trmvn_kernelILi64ELi16ELb0ELb0EPK19rocblas_complex_numIfEPS1_S4_EviT3_lllT4_lllT5_li.num_vgpr, 16
	.set _ZL20rocblas_trmvn_kernelILi64ELi16ELb0ELb0EPK19rocblas_complex_numIfEPS1_S4_EviT3_lllT4_lllT5_li.num_agpr, 0
	.set _ZL20rocblas_trmvn_kernelILi64ELi16ELb0ELb0EPK19rocblas_complex_numIfEPS1_S4_EviT3_lllT4_lllT5_li.numbered_sgpr, 27
	.set _ZL20rocblas_trmvn_kernelILi64ELi16ELb0ELb0EPK19rocblas_complex_numIfEPS1_S4_EviT3_lllT4_lllT5_li.num_named_barrier, 0
	.set _ZL20rocblas_trmvn_kernelILi64ELi16ELb0ELb0EPK19rocblas_complex_numIfEPS1_S4_EviT3_lllT4_lllT5_li.private_seg_size, 0
	.set _ZL20rocblas_trmvn_kernelILi64ELi16ELb0ELb0EPK19rocblas_complex_numIfEPS1_S4_EviT3_lllT4_lllT5_li.uses_vcc, 1
	.set _ZL20rocblas_trmvn_kernelILi64ELi16ELb0ELb0EPK19rocblas_complex_numIfEPS1_S4_EviT3_lllT4_lllT5_li.uses_flat_scratch, 0
	.set _ZL20rocblas_trmvn_kernelILi64ELi16ELb0ELb0EPK19rocblas_complex_numIfEPS1_S4_EviT3_lllT4_lllT5_li.has_dyn_sized_stack, 0
	.set _ZL20rocblas_trmvn_kernelILi64ELi16ELb0ELb0EPK19rocblas_complex_numIfEPS1_S4_EviT3_lllT4_lllT5_li.has_recursion, 0
	.set _ZL20rocblas_trmvn_kernelILi64ELi16ELb0ELb0EPK19rocblas_complex_numIfEPS1_S4_EviT3_lllT4_lllT5_li.has_indirect_call, 0
	.section	.AMDGPU.csdata,"",@progbits
; Kernel info:
; codeLenInByte = 1116
; TotalNumSgprs: 29
; NumVgprs: 16
; ScratchSize: 0
; MemoryBound: 0
; FloatMode: 240
; IeeeMode: 1
; LDSByteSize: 8192 bytes/workgroup (compile time only)
; SGPRBlocks: 0
; VGPRBlocks: 1
; NumSGPRsForWavesPerEU: 29
; NumVGPRsForWavesPerEU: 16
; Occupancy: 16
; WaveLimiterHint : 0
; COMPUTE_PGM_RSRC2:SCRATCH_EN: 0
; COMPUTE_PGM_RSRC2:USER_SGPR: 6
; COMPUTE_PGM_RSRC2:TRAP_HANDLER: 0
; COMPUTE_PGM_RSRC2:TGID_X_EN: 1
; COMPUTE_PGM_RSRC2:TGID_Y_EN: 0
; COMPUTE_PGM_RSRC2:TGID_Z_EN: 1
; COMPUTE_PGM_RSRC2:TIDIG_COMP_CNT: 1
	.section	.text._ZL20rocblas_trmvt_kernelILi512ELb0ELb0ELb0EPK19rocblas_complex_numIfEPS1_S4_EviT3_lllT4_lllT5_li,"axG",@progbits,_ZL20rocblas_trmvt_kernelILi512ELb0ELb0ELb0EPK19rocblas_complex_numIfEPS1_S4_EviT3_lllT4_lllT5_li,comdat
	.globl	_ZL20rocblas_trmvt_kernelILi512ELb0ELb0ELb0EPK19rocblas_complex_numIfEPS1_S4_EviT3_lllT4_lllT5_li ; -- Begin function _ZL20rocblas_trmvt_kernelILi512ELb0ELb0ELb0EPK19rocblas_complex_numIfEPS1_S4_EviT3_lllT4_lllT5_li
	.p2align	8
	.type	_ZL20rocblas_trmvt_kernelILi512ELb0ELb0ELb0EPK19rocblas_complex_numIfEPS1_S4_EviT3_lllT4_lllT5_li,@function
_ZL20rocblas_trmvt_kernelILi512ELb0ELb0ELb0EPK19rocblas_complex_numIfEPS1_S4_EviT3_lllT4_lllT5_li: ; @_ZL20rocblas_trmvt_kernelILi512ELb0ELb0ELb0EPK19rocblas_complex_numIfEPS1_S4_EviT3_lllT4_lllT5_li
; %bb.0:
	s_clause 0x1
	s_load_dwordx16 s[8:23], s[4:5], 0x8
	s_load_dword s3, s[4:5], 0x0
	s_mov_b32 s0, s7
	v_mov_b32_e32 v5, 0
	v_cmp_eq_u32_e32 vcc_lo, 0, v0
	v_mov_b32_e32 v6, 0
	s_waitcnt lgkmcnt(0)
	s_mul_i32 s1, s15, s7
	s_mul_hi_u32 s2, s14, s7
	s_mul_i32 s14, s14, s7
	s_add_i32 s15, s2, s1
	v_cmp_gt_i32_e64 s1, s3, v0
	s_lshl_b64 s[14:15], s[14:15], 3
	s_mul_i32 s23, s23, s7
	s_add_u32 s2, s8, s14
	s_mul_hi_u32 s24, s22, s7
	v_cndmask_b32_e64 v1, 0, v0, s1
	s_addc_u32 s7, s9, s15
	s_lshl_b64 s[8:9], s[10:11], 3
	s_mul_hi_u32 s10, s12, s6
	s_add_u32 s2, s2, s8
	s_addc_u32 s11, s7, s9
	s_ashr_i32 s7, s6, 31
	v_lshlrev_b32_e32 v1, 3, v1
	s_mul_i32 s8, s12, s7
	s_mul_i32 s9, s13, s6
	s_add_i32 s10, s10, s8
	s_mul_i32 s8, s12, s6
	v_add_co_u32 v1, s2, s2, v1
	s_add_i32 s9, s10, s9
	v_add_co_ci_u32_e64 v2, null, s11, 0, s2
	s_lshl_b64 s[8:9], s[8:9], 3
	v_add_co_u32 v1, s2, v1, s8
	v_add_co_ci_u32_e64 v2, null, s9, v2, s2
	s_add_i32 s9, s24, s23
	s_mul_i32 s8, s22, s0
	s_and_saveexec_b32 s10, vcc_lo
	s_cbranch_execz .LBB28_2
; %bb.1:
	s_lshl_b64 s[12:13], s[8:9], 3
	s_add_u32 s2, s16, s12
	s_addc_u32 s11, s17, s13
	s_lshl_b64 s[12:13], s[18:19], 3
	s_add_u32 s14, s2, s12
	s_addc_u32 s11, s11, s13
	s_lshl_b64 s[12:13], s[6:7], 3
	v_add_co_u32 v3, s2, v1, s12
	v_add_co_ci_u32_e64 v4, null, s13, v2, s2
	s_mul_i32 s2, s20, s7
	s_mul_hi_u32 s12, s20, s6
	s_mul_i32 s13, s21, s6
	global_load_dwordx2 v[3:4], v[3:4], off
	s_add_i32 s2, s12, s2
	s_mul_i32 s12, s20, s6
	s_add_i32 s13, s2, s13
	s_lshl_b64 s[12:13], s[12:13], 3
	s_add_u32 s12, s14, s12
	s_addc_u32 s13, s11, s13
	s_load_dwordx2 s[12:13], s[12:13], 0x0
	s_waitcnt vmcnt(0) lgkmcnt(0)
	v_mul_f32_e32 v5, s13, v4
	v_mul_f32_e32 v4, s12, v4
	v_fma_f32 v5, s12, v3, -v5
	v_fmac_f32_e32 v4, s13, v3
	v_add_f32_e32 v5, 0, v5
	v_add_f32_e32 v6, 0, v4
.LBB28_2:
	s_or_b32 exec_lo, exec_lo, s10
	s_and_saveexec_b32 s10, s1
	s_cbranch_execz .LBB28_8
; %bb.3:
	v_mad_u64_u32 v[3:4], null, s20, v0, 0
	s_lshl_b64 s[12:13], s[18:19], 3
	s_lshl_b64 s[8:9], s[8:9], 3
	s_add_u32 s1, s16, s12
	s_addc_u32 s2, s17, s13
	s_add_u32 s1, s1, s8
	s_addc_u32 s2, s2, s9
	v_mad_u64_u32 v[7:8], null, s21, v0, v[4:5]
	s_lshl_b64 s[8:9], s[20:21], 12
	s_mov_b32 s11, 0
	v_mov_b32_e32 v4, v7
	v_mov_b32_e32 v7, v0
	v_lshlrev_b64 v[3:4], 3, v[3:4]
	v_add_co_u32 v3, s1, s1, v3
	v_add_co_ci_u32_e64 v4, null, s2, v4, s1
	v_add_co_u32 v3, s1, v3, 4
	v_add_co_ci_u32_e64 v4, null, 0, v4, s1
	s_inst_prefetch 0x1
	s_branch .LBB28_5
	.p2align	6
.LBB28_4:                               ;   in Loop: Header=BB28_5 Depth=1
	s_or_b32 exec_lo, exec_lo, s2
	v_add_nc_u32_e32 v7, 0x200, v7
	v_add_co_u32 v1, s1, 0x1000, v1
	v_add_co_ci_u32_e64 v2, null, 0, v2, s1
	v_cmp_le_i32_e64 s1, s3, v7
	v_add_co_u32 v3, s2, v3, s8
	v_add_co_ci_u32_e64 v4, null, s9, v4, s2
	s_or_b32 s11, s1, s11
	s_andn2_b32 exec_lo, exec_lo, s11
	s_cbranch_execz .LBB28_7
.LBB28_5:                               ; =>This Inner Loop Header: Depth=1
	s_mov_b32 s2, exec_lo
	v_cmpx_gt_i32_e64 s6, v7
	s_cbranch_execz .LBB28_4
; %bb.6:                                ;   in Loop: Header=BB28_5 Depth=1
	global_load_dwordx2 v[8:9], v[1:2], off
	global_load_dwordx2 v[10:11], v[3:4], off offset:-4
	s_waitcnt vmcnt(0)
	v_mul_f32_e32 v12, v11, v9
	v_mul_f32_e32 v9, v10, v9
	v_fma_f32 v10, v10, v8, -v12
	v_fmac_f32_e32 v9, v11, v8
	v_add_f32_e32 v5, v5, v10
	v_add_f32_e32 v6, v6, v9
	s_branch .LBB28_4
.LBB28_7:
	s_inst_prefetch 0x2
	s_or_b32 exec_lo, exec_lo, s11
.LBB28_8:
	s_or_b32 exec_lo, exec_lo, s10
	v_and_b32_e32 v1, 31, v0
	v_cmp_gt_u32_e64 s1, 32, v0
	v_lshlrev_b32_e32 v2, 3, v1
	s_and_saveexec_b32 s2, s1
; %bb.9:
	v_mov_b32_e32 v3, 0
	v_mov_b32_e32 v4, v3
	ds_write_b64 v2, v[3:4]
; %bb.10:
	s_or_b32 exec_lo, exec_lo, s2
	v_mbcnt_lo_u32_b32 v7, -1, 0
	s_mov_b32 s3, exec_lo
	s_waitcnt lgkmcnt(0)
	s_barrier
	buffer_gl0_inv
	v_lshl_or_b32 v3, v7, 2, 64
	v_cmp_gt_u32_e64 s2, 24, v7
	ds_bpermute_b32 v4, v3, v5
	ds_bpermute_b32 v8, v3, v6
	v_cndmask_b32_e64 v3, 0, 8, s2
	v_cmp_gt_u32_e64 s2, 28, v7
	v_add_lshl_u32 v3, v3, v7, 2
	s_waitcnt lgkmcnt(1)
	v_add_f32_e32 v5, v5, v4
	s_waitcnt lgkmcnt(0)
	v_add_f32_e32 v6, v6, v8
	v_cndmask_b32_e64 v4, 0, 4, s2
	v_cmp_gt_u32_e64 s2, 30, v7
	ds_bpermute_b32 v8, v3, v5
	ds_bpermute_b32 v9, v3, v6
	v_add_lshl_u32 v4, v4, v7, 2
	s_waitcnt lgkmcnt(1)
	v_add_f32_e32 v8, v5, v8
	s_waitcnt lgkmcnt(0)
	v_add_f32_e32 v6, v6, v9
	v_cndmask_b32_e64 v5, 0, 2, s2
	v_cmp_ne_u32_e64 s2, 31, v7
	ds_bpermute_b32 v9, v4, v8
	ds_bpermute_b32 v10, v4, v6
	v_add_lshl_u32 v5, v5, v7, 2
	s_waitcnt lgkmcnt(1)
	v_add_f32_e32 v8, v8, v9
	s_waitcnt lgkmcnt(0)
	v_add_f32_e32 v9, v6, v10
	v_add_co_ci_u32_e64 v6, null, 0, v7, s2
	ds_bpermute_b32 v10, v5, v8
	ds_bpermute_b32 v11, v5, v9
	v_lshlrev_b32_e32 v6, 2, v6
	s_waitcnt lgkmcnt(1)
	v_add_f32_e32 v7, v8, v10
	s_waitcnt lgkmcnt(0)
	v_add_f32_e32 v9, v9, v11
	ds_bpermute_b32 v8, v6, v7
	ds_bpermute_b32 v10, v6, v9
	v_cmpx_eq_u32_e32 0, v1
	s_cbranch_execz .LBB28_12
; %bb.11:
	v_lshrrev_b32_e32 v1, 2, v0
	s_waitcnt lgkmcnt(0)
	v_add_f32_e32 v9, v9, v10
	v_add_f32_e32 v8, v7, v8
	v_and_b32_e32 v1, 0x78, v1
	ds_write_b64 v1, v[8:9]
.LBB28_12:
	s_or_b32 exec_lo, exec_lo, s3
	v_cmp_gt_u32_e64 s2, 16, v0
	v_mov_b32_e32 v1, 0
	v_mov_b32_e32 v0, 0
	s_waitcnt lgkmcnt(0)
	s_barrier
	buffer_gl0_inv
	s_and_saveexec_b32 s3, s2
	s_cbranch_execnz .LBB28_16
; %bb.13:
	s_or_b32 exec_lo, exec_lo, s3
	s_and_saveexec_b32 s2, s1
	s_cbranch_execnz .LBB28_17
.LBB28_14:
	s_or_b32 exec_lo, exec_lo, s2
	s_and_saveexec_b32 s1, vcc_lo
	s_cbranch_execnz .LBB28_18
.LBB28_15:
	s_endpgm
.LBB28_16:
	ds_read_b64 v[0:1], v2
	s_or_b32 exec_lo, exec_lo, s3
	s_and_saveexec_b32 s2, s1
	s_cbranch_execz .LBB28_14
.LBB28_17:
	s_waitcnt lgkmcnt(0)
	ds_bpermute_b32 v2, v3, v0
	ds_bpermute_b32 v3, v3, v1
	s_waitcnt lgkmcnt(1)
	v_add_f32_e32 v0, v0, v2
	s_waitcnt lgkmcnt(0)
	v_add_f32_e32 v1, v1, v3
	ds_bpermute_b32 v2, v4, v0
	ds_bpermute_b32 v3, v4, v1
	s_waitcnt lgkmcnt(1)
	v_add_f32_e32 v0, v0, v2
	s_waitcnt lgkmcnt(0)
	v_add_f32_e32 v1, v1, v3
	;; [unrolled: 6-line block ×4, first 2 shown]
	s_or_b32 exec_lo, exec_lo, s2
	s_and_saveexec_b32 s1, vcc_lo
	s_cbranch_execz .LBB28_15
.LBB28_18:
	s_load_dwordx4 s[8:11], s[4:5], 0x48
	v_mov_b32_e32 v2, 0
	s_waitcnt lgkmcnt(0)
	s_mul_i32 s1, s11, s0
	s_mul_hi_u32 s2, s10, s0
	s_mul_i32 s0, s10, s0
	s_add_i32 s1, s2, s1
	s_lshl_b64 s[0:1], s[0:1], 3
	s_add_u32 s2, s8, s0
	s_addc_u32 s3, s9, s1
	s_lshl_b64 s[0:1], s[6:7], 3
	s_add_u32 s0, s2, s0
	s_addc_u32 s1, s3, s1
	global_store_dwordx2 v2, v[0:1], s[0:1]
	s_endpgm
	.section	.rodata,"a",@progbits
	.p2align	6, 0x0
	.amdhsa_kernel _ZL20rocblas_trmvt_kernelILi512ELb0ELb0ELb0EPK19rocblas_complex_numIfEPS1_S4_EviT3_lllT4_lllT5_li
		.amdhsa_group_segment_fixed_size 256
		.amdhsa_private_segment_fixed_size 0
		.amdhsa_kernarg_size 92
		.amdhsa_user_sgpr_count 6
		.amdhsa_user_sgpr_private_segment_buffer 1
		.amdhsa_user_sgpr_dispatch_ptr 0
		.amdhsa_user_sgpr_queue_ptr 0
		.amdhsa_user_sgpr_kernarg_segment_ptr 1
		.amdhsa_user_sgpr_dispatch_id 0
		.amdhsa_user_sgpr_flat_scratch_init 0
		.amdhsa_user_sgpr_private_segment_size 0
		.amdhsa_wavefront_size32 1
		.amdhsa_uses_dynamic_stack 0
		.amdhsa_system_sgpr_private_segment_wavefront_offset 0
		.amdhsa_system_sgpr_workgroup_id_x 1
		.amdhsa_system_sgpr_workgroup_id_y 0
		.amdhsa_system_sgpr_workgroup_id_z 1
		.amdhsa_system_sgpr_workgroup_info 0
		.amdhsa_system_vgpr_workitem_id 0
		.amdhsa_next_free_vgpr 13
		.amdhsa_next_free_sgpr 25
		.amdhsa_reserve_vcc 1
		.amdhsa_reserve_flat_scratch 0
		.amdhsa_float_round_mode_32 0
		.amdhsa_float_round_mode_16_64 0
		.amdhsa_float_denorm_mode_32 3
		.amdhsa_float_denorm_mode_16_64 3
		.amdhsa_dx10_clamp 1
		.amdhsa_ieee_mode 1
		.amdhsa_fp16_overflow 0
		.amdhsa_workgroup_processor_mode 1
		.amdhsa_memory_ordered 1
		.amdhsa_forward_progress 1
		.amdhsa_shared_vgpr_count 0
		.amdhsa_exception_fp_ieee_invalid_op 0
		.amdhsa_exception_fp_denorm_src 0
		.amdhsa_exception_fp_ieee_div_zero 0
		.amdhsa_exception_fp_ieee_overflow 0
		.amdhsa_exception_fp_ieee_underflow 0
		.amdhsa_exception_fp_ieee_inexact 0
		.amdhsa_exception_int_div_zero 0
	.end_amdhsa_kernel
	.section	.text._ZL20rocblas_trmvt_kernelILi512ELb0ELb0ELb0EPK19rocblas_complex_numIfEPS1_S4_EviT3_lllT4_lllT5_li,"axG",@progbits,_ZL20rocblas_trmvt_kernelILi512ELb0ELb0ELb0EPK19rocblas_complex_numIfEPS1_S4_EviT3_lllT4_lllT5_li,comdat
.Lfunc_end28:
	.size	_ZL20rocblas_trmvt_kernelILi512ELb0ELb0ELb0EPK19rocblas_complex_numIfEPS1_S4_EviT3_lllT4_lllT5_li, .Lfunc_end28-_ZL20rocblas_trmvt_kernelILi512ELb0ELb0ELb0EPK19rocblas_complex_numIfEPS1_S4_EviT3_lllT4_lllT5_li
                                        ; -- End function
	.set _ZL20rocblas_trmvt_kernelILi512ELb0ELb0ELb0EPK19rocblas_complex_numIfEPS1_S4_EviT3_lllT4_lllT5_li.num_vgpr, 13
	.set _ZL20rocblas_trmvt_kernelILi512ELb0ELb0ELb0EPK19rocblas_complex_numIfEPS1_S4_EviT3_lllT4_lllT5_li.num_agpr, 0
	.set _ZL20rocblas_trmvt_kernelILi512ELb0ELb0ELb0EPK19rocblas_complex_numIfEPS1_S4_EviT3_lllT4_lllT5_li.numbered_sgpr, 25
	.set _ZL20rocblas_trmvt_kernelILi512ELb0ELb0ELb0EPK19rocblas_complex_numIfEPS1_S4_EviT3_lllT4_lllT5_li.num_named_barrier, 0
	.set _ZL20rocblas_trmvt_kernelILi512ELb0ELb0ELb0EPK19rocblas_complex_numIfEPS1_S4_EviT3_lllT4_lllT5_li.private_seg_size, 0
	.set _ZL20rocblas_trmvt_kernelILi512ELb0ELb0ELb0EPK19rocblas_complex_numIfEPS1_S4_EviT3_lllT4_lllT5_li.uses_vcc, 1
	.set _ZL20rocblas_trmvt_kernelILi512ELb0ELb0ELb0EPK19rocblas_complex_numIfEPS1_S4_EviT3_lllT4_lllT5_li.uses_flat_scratch, 0
	.set _ZL20rocblas_trmvt_kernelILi512ELb0ELb0ELb0EPK19rocblas_complex_numIfEPS1_S4_EviT3_lllT4_lllT5_li.has_dyn_sized_stack, 0
	.set _ZL20rocblas_trmvt_kernelILi512ELb0ELb0ELb0EPK19rocblas_complex_numIfEPS1_S4_EviT3_lllT4_lllT5_li.has_recursion, 0
	.set _ZL20rocblas_trmvt_kernelILi512ELb0ELb0ELb0EPK19rocblas_complex_numIfEPS1_S4_EviT3_lllT4_lllT5_li.has_indirect_call, 0
	.section	.AMDGPU.csdata,"",@progbits
; Kernel info:
; codeLenInByte = 1252
; TotalNumSgprs: 27
; NumVgprs: 13
; ScratchSize: 0
; MemoryBound: 0
; FloatMode: 240
; IeeeMode: 1
; LDSByteSize: 256 bytes/workgroup (compile time only)
; SGPRBlocks: 0
; VGPRBlocks: 1
; NumSGPRsForWavesPerEU: 27
; NumVGPRsForWavesPerEU: 13
; Occupancy: 16
; WaveLimiterHint : 0
; COMPUTE_PGM_RSRC2:SCRATCH_EN: 0
; COMPUTE_PGM_RSRC2:USER_SGPR: 6
; COMPUTE_PGM_RSRC2:TRAP_HANDLER: 0
; COMPUTE_PGM_RSRC2:TGID_X_EN: 1
; COMPUTE_PGM_RSRC2:TGID_Y_EN: 0
; COMPUTE_PGM_RSRC2:TGID_Z_EN: 1
; COMPUTE_PGM_RSRC2:TIDIG_COMP_CNT: 0
	.section	.text._ZL20rocblas_trmvt_kernelILi512ELb0ELb1ELb0EPK19rocblas_complex_numIfEPS1_S4_EviT3_lllT4_lllT5_li,"axG",@progbits,_ZL20rocblas_trmvt_kernelILi512ELb0ELb1ELb0EPK19rocblas_complex_numIfEPS1_S4_EviT3_lllT4_lllT5_li,comdat
	.globl	_ZL20rocblas_trmvt_kernelILi512ELb0ELb1ELb0EPK19rocblas_complex_numIfEPS1_S4_EviT3_lllT4_lllT5_li ; -- Begin function _ZL20rocblas_trmvt_kernelILi512ELb0ELb1ELb0EPK19rocblas_complex_numIfEPS1_S4_EviT3_lllT4_lllT5_li
	.p2align	8
	.type	_ZL20rocblas_trmvt_kernelILi512ELb0ELb1ELb0EPK19rocblas_complex_numIfEPS1_S4_EviT3_lllT4_lllT5_li,@function
_ZL20rocblas_trmvt_kernelILi512ELb0ELb1ELb0EPK19rocblas_complex_numIfEPS1_S4_EviT3_lllT4_lllT5_li: ; @_ZL20rocblas_trmvt_kernelILi512ELb0ELb1ELb0EPK19rocblas_complex_numIfEPS1_S4_EviT3_lllT4_lllT5_li
; %bb.0:
	s_clause 0x1
	s_load_dwordx16 s[8:23], s[4:5], 0x8
	s_load_dword s3, s[4:5], 0x0
	s_mov_b32 s0, s7
	s_ashr_i32 s7, s6, 31
	v_mov_b32_e32 v5, 0
	v_cmp_eq_u32_e32 vcc_lo, 0, v0
	v_mov_b32_e32 v6, 0
	s_waitcnt lgkmcnt(0)
	s_mul_i32 s2, s15, s0
	v_cmp_gt_i32_e64 s1, s3, v0
	s_mul_hi_u32 s15, s14, s0
	s_mul_hi_u32 s25, s12, s6
	s_mul_i32 s26, s12, s7
	s_mul_i32 s23, s23, s0
	v_cndmask_b32_e64 v1, 0, v0, s1
	s_mul_hi_u32 s24, s22, s0
	s_mul_i32 s13, s13, s6
	s_add_i32 s15, s15, s2
	s_add_i32 s2, s25, s26
	v_lshlrev_b32_e32 v1, 3, v1
	s_mul_i32 s14, s14, s0
	s_add_i32 s23, s24, s23
	s_mul_i32 s22, s22, s0
	s_add_i32 s13, s2, s13
	s_mul_i32 s12, s12, s6
	s_and_saveexec_b32 s24, vcc_lo
	s_cbranch_execz .LBB29_2
; %bb.1:
	s_lshl_b64 s[26:27], s[14:15], 3
	s_add_u32 s2, s8, s26
	s_addc_u32 s25, s9, s27
	s_lshl_b64 s[26:27], s[10:11], 3
	s_add_u32 s2, s2, s26
	s_addc_u32 s25, s25, s27
	s_lshl_b64 s[26:27], s[22:23], 3
	v_add_co_u32 v2, s2, s2, v1
	s_add_u32 s28, s16, s26
	s_addc_u32 s29, s17, s27
	s_lshl_b64 s[26:27], s[18:19], 3
	v_add_co_ci_u32_e64 v3, null, s25, 0, s2
	s_add_u32 s28, s28, s26
	s_addc_u32 s29, s29, s27
	s_lshl_b64 s[26:27], s[12:13], 3
	s_mul_hi_u32 s25, s20, s6
	v_add_co_u32 v2, s2, v2, s26
	v_add_co_ci_u32_e64 v3, null, s27, v3, s2
	s_lshl_b64 s[26:27], s[6:7], 3
	v_add_co_u32 v2, s2, v2, s26
	v_add_co_ci_u32_e64 v3, null, s27, v3, s2
	s_mul_i32 s2, s20, s7
	s_mul_i32 s27, s21, s6
	s_add_i32 s2, s25, s2
	global_load_dwordx2 v[2:3], v[2:3], off
	s_mul_i32 s26, s20, s6
	s_add_i32 s27, s2, s27
	s_lshl_b64 s[26:27], s[26:27], 3
	s_add_u32 s26, s28, s26
	s_addc_u32 s27, s29, s27
	s_load_dwordx2 s[26:27], s[26:27], 0x0
	s_waitcnt vmcnt(0) lgkmcnt(0)
	v_mul_f32_e32 v4, s27, v3
	v_mul_f32_e32 v3, s26, v3
	v_fmac_f32_e32 v4, s26, v2
	v_fma_f32 v2, v2, s27, -v3
	v_add_f32_e32 v5, 0, v4
	v_add_f32_e32 v6, 0, v2
.LBB29_2:
	s_or_b32 exec_lo, exec_lo, s24
	s_and_saveexec_b32 s24, s1
	s_cbranch_execz .LBB29_8
; %bb.3:
	v_mad_u64_u32 v[2:3], null, s20, v0, 0
	s_lshl_b64 s[18:19], s[18:19], 3
	s_lshl_b64 s[22:23], s[22:23], 3
	s_add_u32 s1, s16, s18
	s_addc_u32 s2, s17, s19
	s_add_u32 s1, s1, s22
	s_addc_u32 s2, s2, s23
	v_mad_u64_u32 v[3:4], null, s21, v0, v[3:4]
	s_lshl_b64 s[16:17], s[12:13], 3
	s_lshl_b64 s[14:15], s[14:15], 3
	;; [unrolled: 1-line block ×3, first 2 shown]
	s_add_u32 s14, s16, s14
	s_addc_u32 s15, s17, s15
	s_lshl_b64 s[10:11], s[10:11], 3
	v_lshlrev_b64 v[2:3], 3, v[2:3]
	s_add_u32 s10, s14, s10
	s_addc_u32 s11, s15, s11
	s_add_u32 s8, s8, s10
	s_addc_u32 s9, s9, s11
	v_add_co_u32 v2, s1, s1, v2
	v_add_co_ci_u32_e64 v3, null, s2, v3, s1
	v_add_co_u32 v4, s1, s8, v1
	v_add_co_ci_u32_e64 v7, null, s9, 0, s1
	;; [unrolled: 2-line block ×4, first 2 shown]
	v_mov_b32_e32 v7, v0
	s_mov_b32 s8, 0
	s_inst_prefetch 0x1
	s_branch .LBB29_5
	.p2align	6
.LBB29_4:                               ;   in Loop: Header=BB29_5 Depth=1
	s_or_b32 exec_lo, exec_lo, s2
	v_add_nc_u32_e32 v7, 0x200, v7
	v_add_co_u32 v1, s1, v1, s12
	v_add_co_ci_u32_e64 v2, null, s13, v2, s1
	v_cmp_le_i32_e64 s1, s3, v7
	v_add_co_u32 v3, s2, 0x1000, v3
	v_add_co_ci_u32_e64 v4, null, 0, v4, s2
	s_or_b32 s8, s1, s8
	s_andn2_b32 exec_lo, exec_lo, s8
	s_cbranch_execz .LBB29_7
.LBB29_5:                               ; =>This Inner Loop Header: Depth=1
	s_mov_b32 s2, exec_lo
	v_cmpx_gt_i32_e64 s6, v7
	s_cbranch_execz .LBB29_4
; %bb.6:                                ;   in Loop: Header=BB29_5 Depth=1
	global_load_dwordx2 v[8:9], v[3:4], off offset:-4
	global_load_dwordx2 v[10:11], v[1:2], off offset:-4
	s_waitcnt vmcnt(0)
	v_mul_f32_e32 v12, v9, v11
	v_mul_f32_e32 v9, v9, v10
	v_fmac_f32_e32 v12, v8, v10
	v_fma_f32 v8, v8, v11, -v9
	v_add_f32_e32 v5, v5, v12
	v_add_f32_e32 v6, v6, v8
	s_branch .LBB29_4
.LBB29_7:
	s_inst_prefetch 0x2
	s_or_b32 exec_lo, exec_lo, s8
.LBB29_8:
	s_or_b32 exec_lo, exec_lo, s24
	v_and_b32_e32 v1, 31, v0
	v_cmp_gt_u32_e64 s1, 32, v0
	v_lshlrev_b32_e32 v2, 3, v1
	s_and_saveexec_b32 s2, s1
; %bb.9:
	v_mov_b32_e32 v3, 0
	v_mov_b32_e32 v4, v3
	ds_write_b64 v2, v[3:4]
; %bb.10:
	s_or_b32 exec_lo, exec_lo, s2
	v_mbcnt_lo_u32_b32 v7, -1, 0
	s_mov_b32 s3, exec_lo
	s_waitcnt lgkmcnt(0)
	s_barrier
	buffer_gl0_inv
	v_lshl_or_b32 v3, v7, 2, 64
	v_cmp_gt_u32_e64 s2, 24, v7
	ds_bpermute_b32 v4, v3, v5
	ds_bpermute_b32 v8, v3, v6
	v_cndmask_b32_e64 v3, 0, 8, s2
	v_cmp_gt_u32_e64 s2, 28, v7
	v_add_lshl_u32 v3, v3, v7, 2
	s_waitcnt lgkmcnt(1)
	v_add_f32_e32 v5, v5, v4
	s_waitcnt lgkmcnt(0)
	v_add_f32_e32 v6, v6, v8
	v_cndmask_b32_e64 v4, 0, 4, s2
	v_cmp_gt_u32_e64 s2, 30, v7
	ds_bpermute_b32 v8, v3, v5
	ds_bpermute_b32 v9, v3, v6
	v_add_lshl_u32 v4, v4, v7, 2
	s_waitcnt lgkmcnt(1)
	v_add_f32_e32 v8, v5, v8
	s_waitcnt lgkmcnt(0)
	v_add_f32_e32 v6, v6, v9
	v_cndmask_b32_e64 v5, 0, 2, s2
	v_cmp_ne_u32_e64 s2, 31, v7
	ds_bpermute_b32 v9, v4, v8
	ds_bpermute_b32 v10, v4, v6
	v_add_lshl_u32 v5, v5, v7, 2
	s_waitcnt lgkmcnt(1)
	v_add_f32_e32 v8, v8, v9
	s_waitcnt lgkmcnt(0)
	v_add_f32_e32 v9, v6, v10
	v_add_co_ci_u32_e64 v6, null, 0, v7, s2
	ds_bpermute_b32 v10, v5, v8
	ds_bpermute_b32 v11, v5, v9
	v_lshlrev_b32_e32 v6, 2, v6
	s_waitcnt lgkmcnt(1)
	v_add_f32_e32 v7, v8, v10
	s_waitcnt lgkmcnt(0)
	v_add_f32_e32 v9, v9, v11
	ds_bpermute_b32 v8, v6, v7
	ds_bpermute_b32 v10, v6, v9
	v_cmpx_eq_u32_e32 0, v1
	s_cbranch_execz .LBB29_12
; %bb.11:
	v_lshrrev_b32_e32 v1, 2, v0
	s_waitcnt lgkmcnt(0)
	v_add_f32_e32 v9, v9, v10
	v_add_f32_e32 v8, v7, v8
	v_and_b32_e32 v1, 0x78, v1
	ds_write_b64 v1, v[8:9]
.LBB29_12:
	s_or_b32 exec_lo, exec_lo, s3
	v_cmp_gt_u32_e64 s2, 16, v0
	v_mov_b32_e32 v1, 0
	v_mov_b32_e32 v0, 0
	s_waitcnt lgkmcnt(0)
	s_barrier
	buffer_gl0_inv
	s_and_saveexec_b32 s3, s2
	s_cbranch_execnz .LBB29_16
; %bb.13:
	s_or_b32 exec_lo, exec_lo, s3
	s_and_saveexec_b32 s2, s1
	s_cbranch_execnz .LBB29_17
.LBB29_14:
	s_or_b32 exec_lo, exec_lo, s2
	s_and_saveexec_b32 s1, vcc_lo
	s_cbranch_execnz .LBB29_18
.LBB29_15:
	s_endpgm
.LBB29_16:
	ds_read_b64 v[0:1], v2
	s_or_b32 exec_lo, exec_lo, s3
	s_and_saveexec_b32 s2, s1
	s_cbranch_execz .LBB29_14
.LBB29_17:
	s_waitcnt lgkmcnt(0)
	ds_bpermute_b32 v2, v3, v0
	ds_bpermute_b32 v3, v3, v1
	s_waitcnt lgkmcnt(1)
	v_add_f32_e32 v0, v0, v2
	s_waitcnt lgkmcnt(0)
	v_add_f32_e32 v1, v1, v3
	ds_bpermute_b32 v2, v4, v0
	ds_bpermute_b32 v3, v4, v1
	s_waitcnt lgkmcnt(1)
	v_add_f32_e32 v0, v0, v2
	s_waitcnt lgkmcnt(0)
	v_add_f32_e32 v1, v1, v3
	ds_bpermute_b32 v2, v5, v0
	ds_bpermute_b32 v3, v5, v1
	s_waitcnt lgkmcnt(1)
	v_add_f32_e32 v0, v0, v2
	s_waitcnt lgkmcnt(0)
	v_add_f32_e32 v1, v1, v3
	ds_bpermute_b32 v2, v6, v0
	ds_bpermute_b32 v3, v6, v1
	s_waitcnt lgkmcnt(1)
	v_add_f32_e32 v0, v0, v2
	s_waitcnt lgkmcnt(0)
	v_add_f32_e32 v1, v1, v3
	s_or_b32 exec_lo, exec_lo, s2
	s_and_saveexec_b32 s1, vcc_lo
	s_cbranch_execz .LBB29_15
.LBB29_18:
	s_load_dwordx4 s[8:11], s[4:5], 0x48
	v_mov_b32_e32 v2, 0
	s_waitcnt lgkmcnt(0)
	s_mul_i32 s1, s11, s0
	s_mul_hi_u32 s2, s10, s0
	s_mul_i32 s0, s10, s0
	s_add_i32 s1, s2, s1
	s_lshl_b64 s[0:1], s[0:1], 3
	s_add_u32 s2, s8, s0
	s_addc_u32 s3, s9, s1
	s_lshl_b64 s[0:1], s[6:7], 3
	s_add_u32 s0, s2, s0
	s_addc_u32 s1, s3, s1
	global_store_dwordx2 v2, v[0:1], s[0:1]
	s_endpgm
	.section	.rodata,"a",@progbits
	.p2align	6, 0x0
	.amdhsa_kernel _ZL20rocblas_trmvt_kernelILi512ELb0ELb1ELb0EPK19rocblas_complex_numIfEPS1_S4_EviT3_lllT4_lllT5_li
		.amdhsa_group_segment_fixed_size 256
		.amdhsa_private_segment_fixed_size 0
		.amdhsa_kernarg_size 92
		.amdhsa_user_sgpr_count 6
		.amdhsa_user_sgpr_private_segment_buffer 1
		.amdhsa_user_sgpr_dispatch_ptr 0
		.amdhsa_user_sgpr_queue_ptr 0
		.amdhsa_user_sgpr_kernarg_segment_ptr 1
		.amdhsa_user_sgpr_dispatch_id 0
		.amdhsa_user_sgpr_flat_scratch_init 0
		.amdhsa_user_sgpr_private_segment_size 0
		.amdhsa_wavefront_size32 1
		.amdhsa_uses_dynamic_stack 0
		.amdhsa_system_sgpr_private_segment_wavefront_offset 0
		.amdhsa_system_sgpr_workgroup_id_x 1
		.amdhsa_system_sgpr_workgroup_id_y 0
		.amdhsa_system_sgpr_workgroup_id_z 1
		.amdhsa_system_sgpr_workgroup_info 0
		.amdhsa_system_vgpr_workitem_id 0
		.amdhsa_next_free_vgpr 13
		.amdhsa_next_free_sgpr 30
		.amdhsa_reserve_vcc 1
		.amdhsa_reserve_flat_scratch 0
		.amdhsa_float_round_mode_32 0
		.amdhsa_float_round_mode_16_64 0
		.amdhsa_float_denorm_mode_32 3
		.amdhsa_float_denorm_mode_16_64 3
		.amdhsa_dx10_clamp 1
		.amdhsa_ieee_mode 1
		.amdhsa_fp16_overflow 0
		.amdhsa_workgroup_processor_mode 1
		.amdhsa_memory_ordered 1
		.amdhsa_forward_progress 1
		.amdhsa_shared_vgpr_count 0
		.amdhsa_exception_fp_ieee_invalid_op 0
		.amdhsa_exception_fp_denorm_src 0
		.amdhsa_exception_fp_ieee_div_zero 0
		.amdhsa_exception_fp_ieee_overflow 0
		.amdhsa_exception_fp_ieee_underflow 0
		.amdhsa_exception_fp_ieee_inexact 0
		.amdhsa_exception_int_div_zero 0
	.end_amdhsa_kernel
	.section	.text._ZL20rocblas_trmvt_kernelILi512ELb0ELb1ELb0EPK19rocblas_complex_numIfEPS1_S4_EviT3_lllT4_lllT5_li,"axG",@progbits,_ZL20rocblas_trmvt_kernelILi512ELb0ELb1ELb0EPK19rocblas_complex_numIfEPS1_S4_EviT3_lllT4_lllT5_li,comdat
.Lfunc_end29:
	.size	_ZL20rocblas_trmvt_kernelILi512ELb0ELb1ELb0EPK19rocblas_complex_numIfEPS1_S4_EviT3_lllT4_lllT5_li, .Lfunc_end29-_ZL20rocblas_trmvt_kernelILi512ELb0ELb1ELb0EPK19rocblas_complex_numIfEPS1_S4_EviT3_lllT4_lllT5_li
                                        ; -- End function
	.set _ZL20rocblas_trmvt_kernelILi512ELb0ELb1ELb0EPK19rocblas_complex_numIfEPS1_S4_EviT3_lllT4_lllT5_li.num_vgpr, 13
	.set _ZL20rocblas_trmvt_kernelILi512ELb0ELb1ELb0EPK19rocblas_complex_numIfEPS1_S4_EviT3_lllT4_lllT5_li.num_agpr, 0
	.set _ZL20rocblas_trmvt_kernelILi512ELb0ELb1ELb0EPK19rocblas_complex_numIfEPS1_S4_EviT3_lllT4_lllT5_li.numbered_sgpr, 30
	.set _ZL20rocblas_trmvt_kernelILi512ELb0ELb1ELb0EPK19rocblas_complex_numIfEPS1_S4_EviT3_lllT4_lllT5_li.num_named_barrier, 0
	.set _ZL20rocblas_trmvt_kernelILi512ELb0ELb1ELb0EPK19rocblas_complex_numIfEPS1_S4_EviT3_lllT4_lllT5_li.private_seg_size, 0
	.set _ZL20rocblas_trmvt_kernelILi512ELb0ELb1ELb0EPK19rocblas_complex_numIfEPS1_S4_EviT3_lllT4_lllT5_li.uses_vcc, 1
	.set _ZL20rocblas_trmvt_kernelILi512ELb0ELb1ELb0EPK19rocblas_complex_numIfEPS1_S4_EviT3_lllT4_lllT5_li.uses_flat_scratch, 0
	.set _ZL20rocblas_trmvt_kernelILi512ELb0ELb1ELb0EPK19rocblas_complex_numIfEPS1_S4_EviT3_lllT4_lllT5_li.has_dyn_sized_stack, 0
	.set _ZL20rocblas_trmvt_kernelILi512ELb0ELb1ELb0EPK19rocblas_complex_numIfEPS1_S4_EviT3_lllT4_lllT5_li.has_recursion, 0
	.set _ZL20rocblas_trmvt_kernelILi512ELb0ELb1ELb0EPK19rocblas_complex_numIfEPS1_S4_EviT3_lllT4_lllT5_li.has_indirect_call, 0
	.section	.AMDGPU.csdata,"",@progbits
; Kernel info:
; codeLenInByte = 1316
; TotalNumSgprs: 32
; NumVgprs: 13
; ScratchSize: 0
; MemoryBound: 0
; FloatMode: 240
; IeeeMode: 1
; LDSByteSize: 256 bytes/workgroup (compile time only)
; SGPRBlocks: 0
; VGPRBlocks: 1
; NumSGPRsForWavesPerEU: 32
; NumVGPRsForWavesPerEU: 13
; Occupancy: 16
; WaveLimiterHint : 0
; COMPUTE_PGM_RSRC2:SCRATCH_EN: 0
; COMPUTE_PGM_RSRC2:USER_SGPR: 6
; COMPUTE_PGM_RSRC2:TRAP_HANDLER: 0
; COMPUTE_PGM_RSRC2:TGID_X_EN: 1
; COMPUTE_PGM_RSRC2:TGID_Y_EN: 0
; COMPUTE_PGM_RSRC2:TGID_Z_EN: 1
; COMPUTE_PGM_RSRC2:TIDIG_COMP_CNT: 0
	.section	.text._ZL20rocblas_trmvn_kernelILi64ELi16ELb1ELb1EPK19rocblas_complex_numIfEPS1_S4_EviT3_lllT4_lllT5_li,"axG",@progbits,_ZL20rocblas_trmvn_kernelILi64ELi16ELb1ELb1EPK19rocblas_complex_numIfEPS1_S4_EviT3_lllT4_lllT5_li,comdat
	.globl	_ZL20rocblas_trmvn_kernelILi64ELi16ELb1ELb1EPK19rocblas_complex_numIfEPS1_S4_EviT3_lllT4_lllT5_li ; -- Begin function _ZL20rocblas_trmvn_kernelILi64ELi16ELb1ELb1EPK19rocblas_complex_numIfEPS1_S4_EviT3_lllT4_lllT5_li
	.p2align	8
	.type	_ZL20rocblas_trmvn_kernelILi64ELi16ELb1ELb1EPK19rocblas_complex_numIfEPS1_S4_EviT3_lllT4_lllT5_li,@function
_ZL20rocblas_trmvn_kernelILi64ELi16ELb1ELb1EPK19rocblas_complex_numIfEPS1_S4_EviT3_lllT4_lllT5_li: ; @_ZL20rocblas_trmvn_kernelILi64ELi16ELb1ELb1EPK19rocblas_complex_numIfEPS1_S4_EviT3_lllT4_lllT5_li
; %bb.0:
	s_clause 0x1
	s_load_dwordx16 s[8:23], s[4:5], 0x8
	s_load_dword s24, s[4:5], 0x0
	v_lshl_add_u32 v2, s6, 6, v0
	v_mov_b32_e32 v4, 0
	v_cmp_eq_u32_e64 s0, 0, v1
	v_mov_b32_e32 v5, v4
	s_waitcnt lgkmcnt(0)
	s_mul_i32 s1, s23, s7
	v_cmp_gt_i32_e32 vcc_lo, s24, v2
	s_mul_hi_u32 s2, s22, s7
	s_add_i32 s3, s2, s1
	s_mul_i32 s2, s22, s7
	s_and_b32 s0, s0, vcc_lo
	s_and_saveexec_b32 s1, s0
	s_cbranch_execz .LBB30_2
; %bb.1:
	v_ashrrev_i32_e32 v5, 31, v2
	v_mul_lo_u32 v6, s21, v2
	v_mad_u64_u32 v[3:4], null, s20, v2, 0
	s_lshl_b64 s[22:23], s[2:3], 3
	v_mul_lo_u32 v5, s20, v5
	s_add_u32 s0, s16, s22
	s_addc_u32 s6, s17, s23
	s_lshl_b64 s[22:23], s[18:19], 3
	s_add_u32 s0, s0, s22
	s_addc_u32 s6, s6, s23
	v_add3_u32 v4, v4, v5, v6
	v_lshlrev_b64 v[3:4], 3, v[3:4]
	v_add_co_u32 v3, s0, s0, v3
	v_add_co_ci_u32_e64 v4, null, s6, v4, s0
	global_load_dwordx2 v[4:5], v[3:4], off
.LBB30_2:
	s_or_b32 exec_lo, exec_lo, s1
	s_load_dword s6, s[4:5], 0x6c
	s_mov_b32 s22, exec_lo
	v_cmpx_gt_i32_e64 s24, v1
	s_cbranch_execz .LBB30_8
; %bb.3:
	v_mad_u64_u32 v[6:7], null, s12, v1, 0
	v_mad_u64_u32 v[8:9], null, s20, v1, 0
	s_lshl_b64 s[0:1], s[2:3], 3
	s_lshl_b64 s[2:3], s[18:19], 3
	s_mul_i32 s15, s15, s7
	s_add_u32 s2, s16, s2
	s_mul_hi_u32 s18, s14, s7
	s_addc_u32 s3, s17, s3
	v_mad_u64_u32 v[10:11], null, s13, v1, v[7:8]
	s_add_u32 s16, s2, s0
	s_mul_i32 s14, s14, s7
	s_addc_u32 s17, s3, s1
	s_add_i32 s15, s18, s15
	s_lshl_b64 s[0:1], s[10:11], 3
	s_lshl_b64 s[10:11], s[14:15], 3
	v_mad_u64_u32 v[11:12], null, s21, v1, v[9:10]
	v_mov_b32_e32 v7, v10
	v_ashrrev_i32_e32 v3, 31, v2
	s_lshl_b64 s[2:3], s[20:21], 7
	s_add_u32 s0, s0, s10
	s_addc_u32 s1, s1, s11
	v_lshlrev_b64 v[6:7], 3, v[6:7]
	v_mov_b32_e32 v9, v11
	s_mov_b32 s10, 0
	v_add_co_u32 v10, s0, s0, v6
	v_lshlrev_b64 v[8:9], 3, v[8:9]
	v_add_co_ci_u32_e64 v11, null, s1, v7, s0
	v_lshlrev_b64 v[6:7], 3, v[2:3]
	v_add_co_u32 v3, s0, s16, v8
	v_add_co_ci_u32_e64 v8, null, s17, v9, s0
	v_add_co_u32 v9, s0, v10, v6
	v_add_co_ci_u32_e64 v10, null, v11, v7, s0
	;; [unrolled: 2-line block ×4, first 2 shown]
	v_mov_b32_e32 v3, v1
	s_lshl_b64 s[8:9], s[12:13], 7
	s_inst_prefetch 0x1
	s_branch .LBB30_5
	.p2align	6
.LBB30_4:                               ;   in Loop: Header=BB30_5 Depth=1
	s_or_b32 exec_lo, exec_lo, s0
	v_add_nc_u32_e32 v3, 16, v3
	v_add_co_u32 v6, s0, v6, s2
	v_add_co_ci_u32_e64 v7, null, s3, v7, s0
	v_cmp_le_i32_e64 s0, s24, v3
	v_add_co_u32 v8, s1, v8, s8
	v_add_co_ci_u32_e64 v9, null, s9, v9, s1
	s_or_b32 s10, s0, s10
	s_andn2_b32 exec_lo, exec_lo, s10
	s_cbranch_execz .LBB30_7
.LBB30_5:                               ; =>This Inner Loop Header: Depth=1
	v_cmp_lt_i32_e64 s0, v3, v2
	s_and_b32 s1, vcc_lo, s0
	s_and_saveexec_b32 s0, s1
	s_cbranch_execz .LBB30_4
; %bb.6:                                ;   in Loop: Header=BB30_5 Depth=1
	global_load_dwordx2 v[10:11], v[8:9], off
	global_load_dwordx2 v[12:13], v[6:7], off offset:-4
	s_waitcnt vmcnt(0)
	v_mul_f32_e32 v14, v13, v11
	v_mul_f32_e32 v11, v12, v11
	v_fma_f32 v12, v12, v10, -v14
	v_fmac_f32_e32 v11, v13, v10
	v_add_f32_e32 v4, v4, v12
	v_add_f32_e32 v5, v5, v11
	s_branch .LBB30_4
.LBB30_7:
	s_inst_prefetch 0x2
	s_or_b32 exec_lo, exec_lo, s10
.LBB30_8:
	s_or_b32 exec_lo, exec_lo, s22
	v_lshlrev_b32_e32 v3, 3, v0
	s_waitcnt lgkmcnt(0)
	s_and_b32 s1, 0xffff, s6
	s_mov_b32 s2, exec_lo
	v_mad_u32_u24 v0, v1, s1, v0
	v_lshl_add_u32 v6, v1, 9, v3
	s_waitcnt vmcnt(0)
	ds_write_b64 v6, v[4:5]
	s_waitcnt lgkmcnt(0)
	s_barrier
	buffer_gl0_inv
	v_cmpx_gt_u32_e32 64, v0
	s_cbranch_execz .LBB30_11
; %bb.9:
	v_mul_u32_u24_e32 v0, s1, v1
	v_lshl_add_u32 v0, v0, 3, v3
	ds_read2st64_b64 v[3:6], v0 offset1:1
	ds_read2st64_b64 v[7:10], v0 offset0:2 offset1:3
	ds_read2st64_b64 v[11:14], v0 offset0:4 offset1:5
	s_waitcnt lgkmcnt(2)
	v_add_f32_e32 v1, v3, v5
	v_add_f32_e32 v15, v4, v6
	ds_read2st64_b64 v[3:6], v0 offset0:6 offset1:7
	s_waitcnt lgkmcnt(2)
	v_add_f32_e32 v1, v1, v7
	v_add_f32_e32 v7, v15, v8
	v_add_f32_e32 v1, v1, v9
	v_add_f32_e32 v15, v7, v10
	ds_read2st64_b64 v[7:10], v0 offset0:8 offset1:9
	s_waitcnt lgkmcnt(2)
	v_add_f32_e32 v1, v1, v11
	v_add_f32_e32 v11, v15, v12
	;; [unrolled: 6-line block ×5, first 2 shown]
	v_add_f32_e32 v1, v1, v13
	v_add_f32_e32 v11, v11, v14
	s_waitcnt lgkmcnt(1)
	v_add_f32_e32 v1, v1, v3
	v_add_f32_e32 v3, v11, v4
	;; [unrolled: 1-line block ×4, first 2 shown]
	s_waitcnt lgkmcnt(0)
	v_add_f32_e32 v1, v1, v7
	v_add_f32_e32 v4, v3, v8
	;; [unrolled: 1-line block ×4, first 2 shown]
	ds_write_b64 v0, v[3:4]
	s_and_b32 exec_lo, exec_lo, vcc_lo
	s_cbranch_execz .LBB30_11
; %bb.10:
	s_load_dwordx4 s[0:3], s[4:5], 0x48
	ds_read_b64 v[0:1], v0
	v_ashrrev_i32_e32 v3, 31, v2
	v_lshlrev_b64 v[2:3], 3, v[2:3]
	s_waitcnt lgkmcnt(0)
	s_mul_i32 s3, s3, s7
	s_mul_hi_u32 s4, s2, s7
	s_mul_i32 s2, s2, s7
	s_add_i32 s3, s4, s3
	s_lshl_b64 s[2:3], s[2:3], 3
	s_add_u32 s0, s0, s2
	s_addc_u32 s1, s1, s3
	v_add_co_u32 v2, vcc_lo, s0, v2
	v_add_co_ci_u32_e64 v3, null, s1, v3, vcc_lo
	global_store_dwordx2 v[2:3], v[0:1], off
.LBB30_11:
	s_endpgm
	.section	.rodata,"a",@progbits
	.p2align	6, 0x0
	.amdhsa_kernel _ZL20rocblas_trmvn_kernelILi64ELi16ELb1ELb1EPK19rocblas_complex_numIfEPS1_S4_EviT3_lllT4_lllT5_li
		.amdhsa_group_segment_fixed_size 8192
		.amdhsa_private_segment_fixed_size 0
		.amdhsa_kernarg_size 352
		.amdhsa_user_sgpr_count 6
		.amdhsa_user_sgpr_private_segment_buffer 1
		.amdhsa_user_sgpr_dispatch_ptr 0
		.amdhsa_user_sgpr_queue_ptr 0
		.amdhsa_user_sgpr_kernarg_segment_ptr 1
		.amdhsa_user_sgpr_dispatch_id 0
		.amdhsa_user_sgpr_flat_scratch_init 0
		.amdhsa_user_sgpr_private_segment_size 0
		.amdhsa_wavefront_size32 1
		.amdhsa_uses_dynamic_stack 0
		.amdhsa_system_sgpr_private_segment_wavefront_offset 0
		.amdhsa_system_sgpr_workgroup_id_x 1
		.amdhsa_system_sgpr_workgroup_id_y 0
		.amdhsa_system_sgpr_workgroup_id_z 1
		.amdhsa_system_sgpr_workgroup_info 0
		.amdhsa_system_vgpr_workitem_id 1
		.amdhsa_next_free_vgpr 16
		.amdhsa_next_free_sgpr 25
		.amdhsa_reserve_vcc 1
		.amdhsa_reserve_flat_scratch 0
		.amdhsa_float_round_mode_32 0
		.amdhsa_float_round_mode_16_64 0
		.amdhsa_float_denorm_mode_32 3
		.amdhsa_float_denorm_mode_16_64 3
		.amdhsa_dx10_clamp 1
		.amdhsa_ieee_mode 1
		.amdhsa_fp16_overflow 0
		.amdhsa_workgroup_processor_mode 1
		.amdhsa_memory_ordered 1
		.amdhsa_forward_progress 1
		.amdhsa_shared_vgpr_count 0
		.amdhsa_exception_fp_ieee_invalid_op 0
		.amdhsa_exception_fp_denorm_src 0
		.amdhsa_exception_fp_ieee_div_zero 0
		.amdhsa_exception_fp_ieee_overflow 0
		.amdhsa_exception_fp_ieee_underflow 0
		.amdhsa_exception_fp_ieee_inexact 0
		.amdhsa_exception_int_div_zero 0
	.end_amdhsa_kernel
	.section	.text._ZL20rocblas_trmvn_kernelILi64ELi16ELb1ELb1EPK19rocblas_complex_numIfEPS1_S4_EviT3_lllT4_lllT5_li,"axG",@progbits,_ZL20rocblas_trmvn_kernelILi64ELi16ELb1ELb1EPK19rocblas_complex_numIfEPS1_S4_EviT3_lllT4_lllT5_li,comdat
.Lfunc_end30:
	.size	_ZL20rocblas_trmvn_kernelILi64ELi16ELb1ELb1EPK19rocblas_complex_numIfEPS1_S4_EviT3_lllT4_lllT5_li, .Lfunc_end30-_ZL20rocblas_trmvn_kernelILi64ELi16ELb1ELb1EPK19rocblas_complex_numIfEPS1_S4_EviT3_lllT4_lllT5_li
                                        ; -- End function
	.set _ZL20rocblas_trmvn_kernelILi64ELi16ELb1ELb1EPK19rocblas_complex_numIfEPS1_S4_EviT3_lllT4_lllT5_li.num_vgpr, 16
	.set _ZL20rocblas_trmvn_kernelILi64ELi16ELb1ELb1EPK19rocblas_complex_numIfEPS1_S4_EviT3_lllT4_lllT5_li.num_agpr, 0
	.set _ZL20rocblas_trmvn_kernelILi64ELi16ELb1ELb1EPK19rocblas_complex_numIfEPS1_S4_EviT3_lllT4_lllT5_li.numbered_sgpr, 25
	.set _ZL20rocblas_trmvn_kernelILi64ELi16ELb1ELb1EPK19rocblas_complex_numIfEPS1_S4_EviT3_lllT4_lllT5_li.num_named_barrier, 0
	.set _ZL20rocblas_trmvn_kernelILi64ELi16ELb1ELb1EPK19rocblas_complex_numIfEPS1_S4_EviT3_lllT4_lllT5_li.private_seg_size, 0
	.set _ZL20rocblas_trmvn_kernelILi64ELi16ELb1ELb1EPK19rocblas_complex_numIfEPS1_S4_EviT3_lllT4_lllT5_li.uses_vcc, 1
	.set _ZL20rocblas_trmvn_kernelILi64ELi16ELb1ELb1EPK19rocblas_complex_numIfEPS1_S4_EviT3_lllT4_lllT5_li.uses_flat_scratch, 0
	.set _ZL20rocblas_trmvn_kernelILi64ELi16ELb1ELb1EPK19rocblas_complex_numIfEPS1_S4_EviT3_lllT4_lllT5_li.has_dyn_sized_stack, 0
	.set _ZL20rocblas_trmvn_kernelILi64ELi16ELb1ELb1EPK19rocblas_complex_numIfEPS1_S4_EviT3_lllT4_lllT5_li.has_recursion, 0
	.set _ZL20rocblas_trmvn_kernelILi64ELi16ELb1ELb1EPK19rocblas_complex_numIfEPS1_S4_EviT3_lllT4_lllT5_li.has_indirect_call, 0
	.section	.AMDGPU.csdata,"",@progbits
; Kernel info:
; codeLenInByte = 996
; TotalNumSgprs: 27
; NumVgprs: 16
; ScratchSize: 0
; MemoryBound: 0
; FloatMode: 240
; IeeeMode: 1
; LDSByteSize: 8192 bytes/workgroup (compile time only)
; SGPRBlocks: 0
; VGPRBlocks: 1
; NumSGPRsForWavesPerEU: 27
; NumVGPRsForWavesPerEU: 16
; Occupancy: 16
; WaveLimiterHint : 0
; COMPUTE_PGM_RSRC2:SCRATCH_EN: 0
; COMPUTE_PGM_RSRC2:USER_SGPR: 6
; COMPUTE_PGM_RSRC2:TRAP_HANDLER: 0
; COMPUTE_PGM_RSRC2:TGID_X_EN: 1
; COMPUTE_PGM_RSRC2:TGID_Y_EN: 0
; COMPUTE_PGM_RSRC2:TGID_Z_EN: 1
; COMPUTE_PGM_RSRC2:TIDIG_COMP_CNT: 1
	.section	.text._ZL20rocblas_trmvt_kernelILi512ELb1ELb0ELb1EPK19rocblas_complex_numIfEPS1_S4_EviT3_lllT4_lllT5_li,"axG",@progbits,_ZL20rocblas_trmvt_kernelILi512ELb1ELb0ELb1EPK19rocblas_complex_numIfEPS1_S4_EviT3_lllT4_lllT5_li,comdat
	.globl	_ZL20rocblas_trmvt_kernelILi512ELb1ELb0ELb1EPK19rocblas_complex_numIfEPS1_S4_EviT3_lllT4_lllT5_li ; -- Begin function _ZL20rocblas_trmvt_kernelILi512ELb1ELb0ELb1EPK19rocblas_complex_numIfEPS1_S4_EviT3_lllT4_lllT5_li
	.p2align	8
	.type	_ZL20rocblas_trmvt_kernelILi512ELb1ELb0ELb1EPK19rocblas_complex_numIfEPS1_S4_EviT3_lllT4_lllT5_li,@function
_ZL20rocblas_trmvt_kernelILi512ELb1ELb0ELb1EPK19rocblas_complex_numIfEPS1_S4_EviT3_lllT4_lllT5_li: ; @_ZL20rocblas_trmvt_kernelILi512ELb1ELb0ELb1EPK19rocblas_complex_numIfEPS1_S4_EviT3_lllT4_lllT5_li
; %bb.0:
	s_load_dwordx16 s[8:23], s[4:5], 0x8
	v_mov_b32_e32 v5, 0
	v_mov_b32_e32 v6, 0
	v_cmp_eq_u32_e32 vcc_lo, 0, v0
	s_mov_b32 s0, s7
	s_waitcnt lgkmcnt(0)
	s_mul_i32 s1, s23, s7
	s_mul_hi_u32 s3, s22, s7
	s_mul_i32 s2, s22, s7
	s_add_i32 s3, s3, s1
	s_ashr_i32 s7, s6, 31
	s_and_saveexec_b32 s1, vcc_lo
	s_cbranch_execz .LBB31_2
; %bb.1:
	s_lshl_b64 s[22:23], s[2:3], 3
	s_mul_i32 s26, s20, s7
	s_add_u32 s24, s16, s22
	s_addc_u32 s25, s17, s23
	s_lshl_b64 s[22:23], s[18:19], 3
	s_add_u32 s24, s24, s22
	s_mul_hi_u32 s22, s20, s6
	s_addc_u32 s25, s25, s23
	s_add_i32 s22, s22, s26
	s_mul_i32 s23, s21, s6
	s_add_i32 s23, s22, s23
	s_mul_i32 s22, s20, s6
	s_lshl_b64 s[22:23], s[22:23], 3
	s_add_u32 s22, s24, s22
	s_addc_u32 s23, s25, s23
	s_load_dwordx2 s[22:23], s[22:23], 0x0
	s_waitcnt lgkmcnt(0)
	v_add_f32_e64 v5, s22, 0
	v_add_f32_e64 v6, s23, 0
.LBB31_2:
	s_or_b32 exec_lo, exec_lo, s1
	s_load_dword s23, s[4:5], 0x0
	s_waitcnt lgkmcnt(0)
	v_cmp_gt_i32_e64 s1, s23, v0
	s_and_saveexec_b32 s22, s1
	s_cbranch_execz .LBB31_8
; %bb.3:
	v_mad_u64_u32 v[1:2], null, s20, v0, 0
	s_mul_i32 s15, s15, s0
	s_mul_hi_u32 s24, s14, s0
	s_mul_i32 s14, s14, s0
	s_add_i32 s15, s24, s15
	v_cndmask_b32_e64 v4, 0, v0, s1
	s_lshl_b64 s[14:15], s[14:15], 3
	v_mad_u64_u32 v[2:3], null, s21, v0, v[2:3]
	s_add_u32 s14, s8, s14
	s_addc_u32 s15, s9, s15
	s_lshl_b64 s[8:9], s[10:11], 3
	v_lshlrev_b32_e32 v3, 3, v4
	s_add_u32 s10, s14, s8
	s_mul_i32 s1, s12, s7
	s_mul_hi_u32 s8, s12, s6
	s_addc_u32 s11, s15, s9
	s_add_i32 s1, s8, s1
	s_mul_i32 s8, s13, s6
	v_lshlrev_b64 v[1:2], 3, v[1:2]
	s_add_i32 s9, s1, s8
	v_add_co_u32 v3, s1, s10, v3
	s_mul_i32 s8, s12, s6
	v_add_co_ci_u32_e64 v4, null, s11, 0, s1
	s_lshl_b64 s[10:11], s[18:19], 3
	s_lshl_b64 s[8:9], s[8:9], 3
	;; [unrolled: 1-line block ×3, first 2 shown]
	s_add_u32 s1, s16, s10
	s_addc_u32 s10, s17, s11
	s_add_u32 s1, s1, s2
	s_addc_u32 s2, s10, s3
	v_add_co_u32 v7, s1, s1, v1
	v_add_co_ci_u32_e64 v8, null, s2, v2, s1
	v_add_co_u32 v1, s1, v3, s8
	v_add_co_ci_u32_e64 v2, null, s9, v4, s1
	v_add_co_u32 v3, s1, v7, 4
	v_add_co_ci_u32_e64 v4, null, 0, v8, s1
	v_mov_b32_e32 v7, v0
	s_mov_b32 s3, 0
	s_lshl_b64 s[8:9], s[20:21], 12
	s_inst_prefetch 0x1
	s_branch .LBB31_5
	.p2align	6
.LBB31_4:                               ;   in Loop: Header=BB31_5 Depth=1
	s_or_b32 exec_lo, exec_lo, s2
	v_add_nc_u32_e32 v7, 0x200, v7
	v_add_co_u32 v1, s1, 0x1000, v1
	v_add_co_ci_u32_e64 v2, null, 0, v2, s1
	v_cmp_le_i32_e64 s1, s23, v7
	v_add_co_u32 v3, s2, v3, s8
	v_add_co_ci_u32_e64 v4, null, s9, v4, s2
	s_or_b32 s3, s1, s3
	s_andn2_b32 exec_lo, exec_lo, s3
	s_cbranch_execz .LBB31_7
.LBB31_5:                               ; =>This Inner Loop Header: Depth=1
	s_mov_b32 s2, exec_lo
	v_cmpx_lt_i32_e64 s6, v7
	s_cbranch_execz .LBB31_4
; %bb.6:                                ;   in Loop: Header=BB31_5 Depth=1
	global_load_dwordx2 v[8:9], v[1:2], off
	global_load_dwordx2 v[10:11], v[3:4], off offset:-4
	s_waitcnt vmcnt(0)
	v_mul_f32_e32 v12, v11, v9
	v_mul_f32_e32 v9, v10, v9
	v_fma_f32 v10, v10, v8, -v12
	v_fmac_f32_e32 v9, v11, v8
	v_add_f32_e32 v5, v5, v10
	v_add_f32_e32 v6, v6, v9
	s_branch .LBB31_4
.LBB31_7:
	s_inst_prefetch 0x2
	s_or_b32 exec_lo, exec_lo, s3
.LBB31_8:
	s_or_b32 exec_lo, exec_lo, s22
	v_and_b32_e32 v1, 31, v0
	v_cmp_gt_u32_e64 s1, 32, v0
	v_lshlrev_b32_e32 v2, 3, v1
	s_and_saveexec_b32 s2, s1
; %bb.9:
	v_mov_b32_e32 v3, 0
	v_mov_b32_e32 v4, v3
	ds_write_b64 v2, v[3:4]
; %bb.10:
	s_or_b32 exec_lo, exec_lo, s2
	v_mbcnt_lo_u32_b32 v7, -1, 0
	s_mov_b32 s3, exec_lo
	s_waitcnt lgkmcnt(0)
	s_barrier
	buffer_gl0_inv
	v_lshl_or_b32 v3, v7, 2, 64
	v_cmp_gt_u32_e64 s2, 24, v7
	ds_bpermute_b32 v4, v3, v5
	ds_bpermute_b32 v8, v3, v6
	v_cndmask_b32_e64 v3, 0, 8, s2
	v_cmp_gt_u32_e64 s2, 28, v7
	v_add_lshl_u32 v3, v3, v7, 2
	s_waitcnt lgkmcnt(1)
	v_add_f32_e32 v5, v5, v4
	s_waitcnt lgkmcnt(0)
	v_add_f32_e32 v6, v6, v8
	v_cndmask_b32_e64 v4, 0, 4, s2
	v_cmp_gt_u32_e64 s2, 30, v7
	ds_bpermute_b32 v8, v3, v5
	ds_bpermute_b32 v9, v3, v6
	v_add_lshl_u32 v4, v4, v7, 2
	s_waitcnt lgkmcnt(1)
	v_add_f32_e32 v8, v5, v8
	s_waitcnt lgkmcnt(0)
	v_add_f32_e32 v6, v6, v9
	v_cndmask_b32_e64 v5, 0, 2, s2
	v_cmp_ne_u32_e64 s2, 31, v7
	ds_bpermute_b32 v9, v4, v8
	ds_bpermute_b32 v10, v4, v6
	v_add_lshl_u32 v5, v5, v7, 2
	s_waitcnt lgkmcnt(1)
	v_add_f32_e32 v8, v8, v9
	s_waitcnt lgkmcnt(0)
	v_add_f32_e32 v9, v6, v10
	v_add_co_ci_u32_e64 v6, null, 0, v7, s2
	ds_bpermute_b32 v10, v5, v8
	ds_bpermute_b32 v11, v5, v9
	v_lshlrev_b32_e32 v6, 2, v6
	s_waitcnt lgkmcnt(1)
	v_add_f32_e32 v7, v8, v10
	s_waitcnt lgkmcnt(0)
	v_add_f32_e32 v9, v9, v11
	ds_bpermute_b32 v8, v6, v7
	ds_bpermute_b32 v10, v6, v9
	v_cmpx_eq_u32_e32 0, v1
	s_cbranch_execz .LBB31_12
; %bb.11:
	v_lshrrev_b32_e32 v1, 2, v0
	s_waitcnt lgkmcnt(0)
	v_add_f32_e32 v9, v9, v10
	v_add_f32_e32 v8, v7, v8
	v_and_b32_e32 v1, 0x78, v1
	ds_write_b64 v1, v[8:9]
.LBB31_12:
	s_or_b32 exec_lo, exec_lo, s3
	v_cmp_gt_u32_e64 s2, 16, v0
	v_mov_b32_e32 v1, 0
	v_mov_b32_e32 v0, 0
	s_waitcnt lgkmcnt(0)
	s_barrier
	buffer_gl0_inv
	s_and_saveexec_b32 s3, s2
	s_cbranch_execnz .LBB31_16
; %bb.13:
	s_or_b32 exec_lo, exec_lo, s3
	s_and_saveexec_b32 s2, s1
	s_cbranch_execnz .LBB31_17
.LBB31_14:
	s_or_b32 exec_lo, exec_lo, s2
	s_and_saveexec_b32 s1, vcc_lo
	s_cbranch_execnz .LBB31_18
.LBB31_15:
	s_endpgm
.LBB31_16:
	ds_read_b64 v[0:1], v2
	s_or_b32 exec_lo, exec_lo, s3
	s_and_saveexec_b32 s2, s1
	s_cbranch_execz .LBB31_14
.LBB31_17:
	s_waitcnt lgkmcnt(0)
	ds_bpermute_b32 v2, v3, v0
	ds_bpermute_b32 v3, v3, v1
	s_waitcnt lgkmcnt(1)
	v_add_f32_e32 v0, v0, v2
	s_waitcnt lgkmcnt(0)
	v_add_f32_e32 v1, v1, v3
	ds_bpermute_b32 v2, v4, v0
	ds_bpermute_b32 v3, v4, v1
	s_waitcnt lgkmcnt(1)
	v_add_f32_e32 v0, v0, v2
	s_waitcnt lgkmcnt(0)
	v_add_f32_e32 v1, v1, v3
	ds_bpermute_b32 v2, v5, v0
	ds_bpermute_b32 v3, v5, v1
	s_waitcnt lgkmcnt(1)
	v_add_f32_e32 v0, v0, v2
	s_waitcnt lgkmcnt(0)
	v_add_f32_e32 v1, v1, v3
	ds_bpermute_b32 v2, v6, v0
	ds_bpermute_b32 v3, v6, v1
	s_waitcnt lgkmcnt(1)
	v_add_f32_e32 v0, v0, v2
	s_waitcnt lgkmcnt(0)
	v_add_f32_e32 v1, v1, v3
	s_or_b32 exec_lo, exec_lo, s2
	s_and_saveexec_b32 s1, vcc_lo
	s_cbranch_execz .LBB31_15
.LBB31_18:
	s_load_dwordx4 s[8:11], s[4:5], 0x48
	v_mov_b32_e32 v2, 0
	s_waitcnt lgkmcnt(0)
	s_mul_i32 s1, s11, s0
	s_mul_hi_u32 s2, s10, s0
	s_mul_i32 s0, s10, s0
	s_add_i32 s1, s2, s1
	s_lshl_b64 s[0:1], s[0:1], 3
	s_add_u32 s2, s8, s0
	s_addc_u32 s3, s9, s1
	s_lshl_b64 s[0:1], s[6:7], 3
	s_add_u32 s0, s2, s0
	s_addc_u32 s1, s3, s1
	global_store_dwordx2 v2, v[0:1], s[0:1]
	s_endpgm
	.section	.rodata,"a",@progbits
	.p2align	6, 0x0
	.amdhsa_kernel _ZL20rocblas_trmvt_kernelILi512ELb1ELb0ELb1EPK19rocblas_complex_numIfEPS1_S4_EviT3_lllT4_lllT5_li
		.amdhsa_group_segment_fixed_size 256
		.amdhsa_private_segment_fixed_size 0
		.amdhsa_kernarg_size 92
		.amdhsa_user_sgpr_count 6
		.amdhsa_user_sgpr_private_segment_buffer 1
		.amdhsa_user_sgpr_dispatch_ptr 0
		.amdhsa_user_sgpr_queue_ptr 0
		.amdhsa_user_sgpr_kernarg_segment_ptr 1
		.amdhsa_user_sgpr_dispatch_id 0
		.amdhsa_user_sgpr_flat_scratch_init 0
		.amdhsa_user_sgpr_private_segment_size 0
		.amdhsa_wavefront_size32 1
		.amdhsa_uses_dynamic_stack 0
		.amdhsa_system_sgpr_private_segment_wavefront_offset 0
		.amdhsa_system_sgpr_workgroup_id_x 1
		.amdhsa_system_sgpr_workgroup_id_y 0
		.amdhsa_system_sgpr_workgroup_id_z 1
		.amdhsa_system_sgpr_workgroup_info 0
		.amdhsa_system_vgpr_workitem_id 0
		.amdhsa_next_free_vgpr 13
		.amdhsa_next_free_sgpr 27
		.amdhsa_reserve_vcc 1
		.amdhsa_reserve_flat_scratch 0
		.amdhsa_float_round_mode_32 0
		.amdhsa_float_round_mode_16_64 0
		.amdhsa_float_denorm_mode_32 3
		.amdhsa_float_denorm_mode_16_64 3
		.amdhsa_dx10_clamp 1
		.amdhsa_ieee_mode 1
		.amdhsa_fp16_overflow 0
		.amdhsa_workgroup_processor_mode 1
		.amdhsa_memory_ordered 1
		.amdhsa_forward_progress 1
		.amdhsa_shared_vgpr_count 0
		.amdhsa_exception_fp_ieee_invalid_op 0
		.amdhsa_exception_fp_denorm_src 0
		.amdhsa_exception_fp_ieee_div_zero 0
		.amdhsa_exception_fp_ieee_overflow 0
		.amdhsa_exception_fp_ieee_underflow 0
		.amdhsa_exception_fp_ieee_inexact 0
		.amdhsa_exception_int_div_zero 0
	.end_amdhsa_kernel
	.section	.text._ZL20rocblas_trmvt_kernelILi512ELb1ELb0ELb1EPK19rocblas_complex_numIfEPS1_S4_EviT3_lllT4_lllT5_li,"axG",@progbits,_ZL20rocblas_trmvt_kernelILi512ELb1ELb0ELb1EPK19rocblas_complex_numIfEPS1_S4_EviT3_lllT4_lllT5_li,comdat
.Lfunc_end31:
	.size	_ZL20rocblas_trmvt_kernelILi512ELb1ELb0ELb1EPK19rocblas_complex_numIfEPS1_S4_EviT3_lllT4_lllT5_li, .Lfunc_end31-_ZL20rocblas_trmvt_kernelILi512ELb1ELb0ELb1EPK19rocblas_complex_numIfEPS1_S4_EviT3_lllT4_lllT5_li
                                        ; -- End function
	.set _ZL20rocblas_trmvt_kernelILi512ELb1ELb0ELb1EPK19rocblas_complex_numIfEPS1_S4_EviT3_lllT4_lllT5_li.num_vgpr, 13
	.set _ZL20rocblas_trmvt_kernelILi512ELb1ELb0ELb1EPK19rocblas_complex_numIfEPS1_S4_EviT3_lllT4_lllT5_li.num_agpr, 0
	.set _ZL20rocblas_trmvt_kernelILi512ELb1ELb0ELb1EPK19rocblas_complex_numIfEPS1_S4_EviT3_lllT4_lllT5_li.numbered_sgpr, 27
	.set _ZL20rocblas_trmvt_kernelILi512ELb1ELb0ELb1EPK19rocblas_complex_numIfEPS1_S4_EviT3_lllT4_lllT5_li.num_named_barrier, 0
	.set _ZL20rocblas_trmvt_kernelILi512ELb1ELb0ELb1EPK19rocblas_complex_numIfEPS1_S4_EviT3_lllT4_lllT5_li.private_seg_size, 0
	.set _ZL20rocblas_trmvt_kernelILi512ELb1ELb0ELb1EPK19rocblas_complex_numIfEPS1_S4_EviT3_lllT4_lllT5_li.uses_vcc, 1
	.set _ZL20rocblas_trmvt_kernelILi512ELb1ELb0ELb1EPK19rocblas_complex_numIfEPS1_S4_EviT3_lllT4_lllT5_li.uses_flat_scratch, 0
	.set _ZL20rocblas_trmvt_kernelILi512ELb1ELb0ELb1EPK19rocblas_complex_numIfEPS1_S4_EviT3_lllT4_lllT5_li.has_dyn_sized_stack, 0
	.set _ZL20rocblas_trmvt_kernelILi512ELb1ELb0ELb1EPK19rocblas_complex_numIfEPS1_S4_EviT3_lllT4_lllT5_li.has_recursion, 0
	.set _ZL20rocblas_trmvt_kernelILi512ELb1ELb0ELb1EPK19rocblas_complex_numIfEPS1_S4_EviT3_lllT4_lllT5_li.has_indirect_call, 0
	.section	.AMDGPU.csdata,"",@progbits
; Kernel info:
; codeLenInByte = 1252
; TotalNumSgprs: 29
; NumVgprs: 13
; ScratchSize: 0
; MemoryBound: 0
; FloatMode: 240
; IeeeMode: 1
; LDSByteSize: 256 bytes/workgroup (compile time only)
; SGPRBlocks: 0
; VGPRBlocks: 1
; NumSGPRsForWavesPerEU: 29
; NumVGPRsForWavesPerEU: 13
; Occupancy: 16
; WaveLimiterHint : 0
; COMPUTE_PGM_RSRC2:SCRATCH_EN: 0
; COMPUTE_PGM_RSRC2:USER_SGPR: 6
; COMPUTE_PGM_RSRC2:TRAP_HANDLER: 0
; COMPUTE_PGM_RSRC2:TGID_X_EN: 1
; COMPUTE_PGM_RSRC2:TGID_Y_EN: 0
; COMPUTE_PGM_RSRC2:TGID_Z_EN: 1
; COMPUTE_PGM_RSRC2:TIDIG_COMP_CNT: 0
	.section	.text._ZL20rocblas_trmvt_kernelILi512ELb1ELb1ELb1EPK19rocblas_complex_numIfEPS1_S4_EviT3_lllT4_lllT5_li,"axG",@progbits,_ZL20rocblas_trmvt_kernelILi512ELb1ELb1ELb1EPK19rocblas_complex_numIfEPS1_S4_EviT3_lllT4_lllT5_li,comdat
	.globl	_ZL20rocblas_trmvt_kernelILi512ELb1ELb1ELb1EPK19rocblas_complex_numIfEPS1_S4_EviT3_lllT4_lllT5_li ; -- Begin function _ZL20rocblas_trmvt_kernelILi512ELb1ELb1ELb1EPK19rocblas_complex_numIfEPS1_S4_EviT3_lllT4_lllT5_li
	.p2align	8
	.type	_ZL20rocblas_trmvt_kernelILi512ELb1ELb1ELb1EPK19rocblas_complex_numIfEPS1_S4_EviT3_lllT4_lllT5_li,@function
_ZL20rocblas_trmvt_kernelILi512ELb1ELb1ELb1EPK19rocblas_complex_numIfEPS1_S4_EviT3_lllT4_lllT5_li: ; @_ZL20rocblas_trmvt_kernelILi512ELb1ELb1ELb1EPK19rocblas_complex_numIfEPS1_S4_EviT3_lllT4_lllT5_li
; %bb.0:
	s_load_dwordx16 s[8:23], s[4:5], 0x8
	v_mov_b32_e32 v5, 0
	v_mov_b32_e32 v6, 0
	v_cmp_eq_u32_e32 vcc_lo, 0, v0
	s_mov_b32 s0, s7
	s_waitcnt lgkmcnt(0)
	s_mul_i32 s1, s23, s7
	s_mul_hi_u32 s3, s22, s7
	s_mul_i32 s2, s22, s7
	s_add_i32 s3, s3, s1
	s_ashr_i32 s7, s6, 31
	s_and_saveexec_b32 s1, vcc_lo
	s_cbranch_execz .LBB32_2
; %bb.1:
	s_lshl_b64 s[22:23], s[2:3], 3
	s_mul_i32 s26, s20, s7
	s_add_u32 s24, s16, s22
	s_addc_u32 s25, s17, s23
	s_lshl_b64 s[22:23], s[18:19], 3
	s_add_u32 s24, s24, s22
	s_mul_hi_u32 s22, s20, s6
	s_addc_u32 s25, s25, s23
	s_add_i32 s22, s22, s26
	s_mul_i32 s23, s21, s6
	s_add_i32 s23, s22, s23
	s_mul_i32 s22, s20, s6
	s_lshl_b64 s[22:23], s[22:23], 3
	s_add_u32 s22, s24, s22
	s_addc_u32 s23, s25, s23
	s_load_dwordx2 s[22:23], s[22:23], 0x0
	s_waitcnt lgkmcnt(0)
	v_add_f32_e64 v5, s22, 0
	v_add_f32_e64 v6, s23, 0
.LBB32_2:
	s_or_b32 exec_lo, exec_lo, s1
	s_load_dword s23, s[4:5], 0x0
	s_waitcnt lgkmcnt(0)
	v_cmp_gt_i32_e64 s1, s23, v0
	s_and_saveexec_b32 s22, s1
	s_cbranch_execz .LBB32_8
; %bb.3:
	v_mad_u64_u32 v[1:2], null, s20, v0, 0
	s_lshl_b64 s[18:19], s[18:19], 3
	s_lshl_b64 s[2:3], s[2:3], 3
	s_add_u32 s16, s16, s18
	v_cndmask_b32_e64 v4, 0, v0, s1
	s_mul_i32 s1, s12, s7
	s_mul_hi_u32 s24, s12, s6
	v_mad_u64_u32 v[2:3], null, s21, v0, v[2:3]
	s_addc_u32 s17, s17, s19
	s_add_u32 s16, s16, s2
	s_mul_i32 s13, s13, s6
	s_mul_i32 s15, s15, s0
	s_mul_hi_u32 s25, s14, s0
	s_addc_u32 s17, s17, s3
	s_add_i32 s1, s24, s1
	v_lshlrev_b64 v[1:2], 3, v[1:2]
	s_mul_i32 s12, s12, s6
	s_mul_i32 s14, s14, s0
	s_add_i32 s15, s25, s15
	s_add_i32 s13, s1, s13
	s_lshl_b64 s[2:3], s[14:15], 3
	s_lshl_b64 s[14:15], s[12:13], 3
	;; [unrolled: 1-line block ×3, first 2 shown]
	s_add_u32 s14, s14, s2
	s_addc_u32 s15, s15, s3
	s_lshl_b64 s[2:3], s[10:11], 3
	v_add_co_u32 v1, s1, s16, v1
	v_lshlrev_b32_e32 v3, 3, v4
	v_add_co_ci_u32_e64 v2, null, s17, v2, s1
	s_add_u32 s1, s14, s2
	s_addc_u32 s2, s15, s3
	s_add_u32 s1, s8, s1
	s_addc_u32 s2, s9, s2
	v_add_co_u32 v3, s1, s1, v3
	v_add_co_ci_u32_e64 v4, null, s2, 0, s1
	v_add_co_u32 v1, s1, v1, 4
	v_add_co_ci_u32_e64 v2, null, 0, v2, s1
	;; [unrolled: 2-line block ×3, first 2 shown]
	v_mov_b32_e32 v7, v0
	s_mov_b32 s3, 0
	s_inst_prefetch 0x1
	s_branch .LBB32_5
	.p2align	6
.LBB32_4:                               ;   in Loop: Header=BB32_5 Depth=1
	s_or_b32 exec_lo, exec_lo, s2
	v_add_nc_u32_e32 v7, 0x200, v7
	v_add_co_u32 v1, s1, v1, s12
	v_add_co_ci_u32_e64 v2, null, s13, v2, s1
	v_cmp_le_i32_e64 s1, s23, v7
	v_add_co_u32 v3, s2, 0x1000, v3
	v_add_co_ci_u32_e64 v4, null, 0, v4, s2
	s_or_b32 s3, s1, s3
	s_andn2_b32 exec_lo, exec_lo, s3
	s_cbranch_execz .LBB32_7
.LBB32_5:                               ; =>This Inner Loop Header: Depth=1
	s_mov_b32 s2, exec_lo
	v_cmpx_lt_i32_e64 s6, v7
	s_cbranch_execz .LBB32_4
; %bb.6:                                ;   in Loop: Header=BB32_5 Depth=1
	global_load_dwordx2 v[8:9], v[3:4], off offset:-4
	global_load_dwordx2 v[10:11], v[1:2], off offset:-4
	s_waitcnt vmcnt(0)
	v_mul_f32_e32 v12, v9, v11
	v_mul_f32_e32 v9, v9, v10
	v_fmac_f32_e32 v12, v8, v10
	v_fma_f32 v8, v8, v11, -v9
	v_add_f32_e32 v5, v5, v12
	v_add_f32_e32 v6, v6, v8
	s_branch .LBB32_4
.LBB32_7:
	s_inst_prefetch 0x2
	s_or_b32 exec_lo, exec_lo, s3
.LBB32_8:
	s_or_b32 exec_lo, exec_lo, s22
	v_and_b32_e32 v1, 31, v0
	v_cmp_gt_u32_e64 s1, 32, v0
	v_lshlrev_b32_e32 v2, 3, v1
	s_and_saveexec_b32 s2, s1
; %bb.9:
	v_mov_b32_e32 v3, 0
	v_mov_b32_e32 v4, v3
	ds_write_b64 v2, v[3:4]
; %bb.10:
	s_or_b32 exec_lo, exec_lo, s2
	v_mbcnt_lo_u32_b32 v7, -1, 0
	s_mov_b32 s3, exec_lo
	s_waitcnt lgkmcnt(0)
	s_barrier
	buffer_gl0_inv
	v_lshl_or_b32 v3, v7, 2, 64
	v_cmp_gt_u32_e64 s2, 24, v7
	ds_bpermute_b32 v4, v3, v5
	ds_bpermute_b32 v8, v3, v6
	v_cndmask_b32_e64 v3, 0, 8, s2
	v_cmp_gt_u32_e64 s2, 28, v7
	v_add_lshl_u32 v3, v3, v7, 2
	s_waitcnt lgkmcnt(1)
	v_add_f32_e32 v5, v5, v4
	s_waitcnt lgkmcnt(0)
	v_add_f32_e32 v6, v6, v8
	v_cndmask_b32_e64 v4, 0, 4, s2
	v_cmp_gt_u32_e64 s2, 30, v7
	ds_bpermute_b32 v8, v3, v5
	ds_bpermute_b32 v9, v3, v6
	v_add_lshl_u32 v4, v4, v7, 2
	s_waitcnt lgkmcnt(1)
	v_add_f32_e32 v8, v5, v8
	s_waitcnt lgkmcnt(0)
	v_add_f32_e32 v6, v6, v9
	v_cndmask_b32_e64 v5, 0, 2, s2
	v_cmp_ne_u32_e64 s2, 31, v7
	ds_bpermute_b32 v9, v4, v8
	ds_bpermute_b32 v10, v4, v6
	v_add_lshl_u32 v5, v5, v7, 2
	s_waitcnt lgkmcnt(1)
	v_add_f32_e32 v8, v8, v9
	s_waitcnt lgkmcnt(0)
	v_add_f32_e32 v9, v6, v10
	v_add_co_ci_u32_e64 v6, null, 0, v7, s2
	ds_bpermute_b32 v10, v5, v8
	ds_bpermute_b32 v11, v5, v9
	v_lshlrev_b32_e32 v6, 2, v6
	s_waitcnt lgkmcnt(1)
	v_add_f32_e32 v7, v8, v10
	s_waitcnt lgkmcnt(0)
	v_add_f32_e32 v9, v9, v11
	ds_bpermute_b32 v8, v6, v7
	ds_bpermute_b32 v10, v6, v9
	v_cmpx_eq_u32_e32 0, v1
	s_cbranch_execz .LBB32_12
; %bb.11:
	v_lshrrev_b32_e32 v1, 2, v0
	s_waitcnt lgkmcnt(0)
	v_add_f32_e32 v9, v9, v10
	v_add_f32_e32 v8, v7, v8
	v_and_b32_e32 v1, 0x78, v1
	ds_write_b64 v1, v[8:9]
.LBB32_12:
	s_or_b32 exec_lo, exec_lo, s3
	v_cmp_gt_u32_e64 s2, 16, v0
	v_mov_b32_e32 v1, 0
	v_mov_b32_e32 v0, 0
	s_waitcnt lgkmcnt(0)
	s_barrier
	buffer_gl0_inv
	s_and_saveexec_b32 s3, s2
	s_cbranch_execnz .LBB32_16
; %bb.13:
	s_or_b32 exec_lo, exec_lo, s3
	s_and_saveexec_b32 s2, s1
	s_cbranch_execnz .LBB32_17
.LBB32_14:
	s_or_b32 exec_lo, exec_lo, s2
	s_and_saveexec_b32 s1, vcc_lo
	s_cbranch_execnz .LBB32_18
.LBB32_15:
	s_endpgm
.LBB32_16:
	ds_read_b64 v[0:1], v2
	s_or_b32 exec_lo, exec_lo, s3
	s_and_saveexec_b32 s2, s1
	s_cbranch_execz .LBB32_14
.LBB32_17:
	s_waitcnt lgkmcnt(0)
	ds_bpermute_b32 v2, v3, v0
	ds_bpermute_b32 v3, v3, v1
	s_waitcnt lgkmcnt(1)
	v_add_f32_e32 v0, v0, v2
	s_waitcnt lgkmcnt(0)
	v_add_f32_e32 v1, v1, v3
	ds_bpermute_b32 v2, v4, v0
	ds_bpermute_b32 v3, v4, v1
	s_waitcnt lgkmcnt(1)
	v_add_f32_e32 v0, v0, v2
	s_waitcnt lgkmcnt(0)
	v_add_f32_e32 v1, v1, v3
	;; [unrolled: 6-line block ×4, first 2 shown]
	s_or_b32 exec_lo, exec_lo, s2
	s_and_saveexec_b32 s1, vcc_lo
	s_cbranch_execz .LBB32_15
.LBB32_18:
	s_load_dwordx4 s[8:11], s[4:5], 0x48
	v_mov_b32_e32 v2, 0
	s_waitcnt lgkmcnt(0)
	s_mul_i32 s1, s11, s0
	s_mul_hi_u32 s2, s10, s0
	s_mul_i32 s0, s10, s0
	s_add_i32 s1, s2, s1
	s_lshl_b64 s[0:1], s[0:1], 3
	s_add_u32 s2, s8, s0
	s_addc_u32 s3, s9, s1
	s_lshl_b64 s[0:1], s[6:7], 3
	s_add_u32 s0, s2, s0
	s_addc_u32 s1, s3, s1
	global_store_dwordx2 v2, v[0:1], s[0:1]
	s_endpgm
	.section	.rodata,"a",@progbits
	.p2align	6, 0x0
	.amdhsa_kernel _ZL20rocblas_trmvt_kernelILi512ELb1ELb1ELb1EPK19rocblas_complex_numIfEPS1_S4_EviT3_lllT4_lllT5_li
		.amdhsa_group_segment_fixed_size 256
		.amdhsa_private_segment_fixed_size 0
		.amdhsa_kernarg_size 92
		.amdhsa_user_sgpr_count 6
		.amdhsa_user_sgpr_private_segment_buffer 1
		.amdhsa_user_sgpr_dispatch_ptr 0
		.amdhsa_user_sgpr_queue_ptr 0
		.amdhsa_user_sgpr_kernarg_segment_ptr 1
		.amdhsa_user_sgpr_dispatch_id 0
		.amdhsa_user_sgpr_flat_scratch_init 0
		.amdhsa_user_sgpr_private_segment_size 0
		.amdhsa_wavefront_size32 1
		.amdhsa_uses_dynamic_stack 0
		.amdhsa_system_sgpr_private_segment_wavefront_offset 0
		.amdhsa_system_sgpr_workgroup_id_x 1
		.amdhsa_system_sgpr_workgroup_id_y 0
		.amdhsa_system_sgpr_workgroup_id_z 1
		.amdhsa_system_sgpr_workgroup_info 0
		.amdhsa_system_vgpr_workitem_id 0
		.amdhsa_next_free_vgpr 13
		.amdhsa_next_free_sgpr 27
		.amdhsa_reserve_vcc 1
		.amdhsa_reserve_flat_scratch 0
		.amdhsa_float_round_mode_32 0
		.amdhsa_float_round_mode_16_64 0
		.amdhsa_float_denorm_mode_32 3
		.amdhsa_float_denorm_mode_16_64 3
		.amdhsa_dx10_clamp 1
		.amdhsa_ieee_mode 1
		.amdhsa_fp16_overflow 0
		.amdhsa_workgroup_processor_mode 1
		.amdhsa_memory_ordered 1
		.amdhsa_forward_progress 1
		.amdhsa_shared_vgpr_count 0
		.amdhsa_exception_fp_ieee_invalid_op 0
		.amdhsa_exception_fp_denorm_src 0
		.amdhsa_exception_fp_ieee_div_zero 0
		.amdhsa_exception_fp_ieee_overflow 0
		.amdhsa_exception_fp_ieee_underflow 0
		.amdhsa_exception_fp_ieee_inexact 0
		.amdhsa_exception_int_div_zero 0
	.end_amdhsa_kernel
	.section	.text._ZL20rocblas_trmvt_kernelILi512ELb1ELb1ELb1EPK19rocblas_complex_numIfEPS1_S4_EviT3_lllT4_lllT5_li,"axG",@progbits,_ZL20rocblas_trmvt_kernelILi512ELb1ELb1ELb1EPK19rocblas_complex_numIfEPS1_S4_EviT3_lllT4_lllT5_li,comdat
.Lfunc_end32:
	.size	_ZL20rocblas_trmvt_kernelILi512ELb1ELb1ELb1EPK19rocblas_complex_numIfEPS1_S4_EviT3_lllT4_lllT5_li, .Lfunc_end32-_ZL20rocblas_trmvt_kernelILi512ELb1ELb1ELb1EPK19rocblas_complex_numIfEPS1_S4_EviT3_lllT4_lllT5_li
                                        ; -- End function
	.set _ZL20rocblas_trmvt_kernelILi512ELb1ELb1ELb1EPK19rocblas_complex_numIfEPS1_S4_EviT3_lllT4_lllT5_li.num_vgpr, 13
	.set _ZL20rocblas_trmvt_kernelILi512ELb1ELb1ELb1EPK19rocblas_complex_numIfEPS1_S4_EviT3_lllT4_lllT5_li.num_agpr, 0
	.set _ZL20rocblas_trmvt_kernelILi512ELb1ELb1ELb1EPK19rocblas_complex_numIfEPS1_S4_EviT3_lllT4_lllT5_li.numbered_sgpr, 27
	.set _ZL20rocblas_trmvt_kernelILi512ELb1ELb1ELb1EPK19rocblas_complex_numIfEPS1_S4_EviT3_lllT4_lllT5_li.num_named_barrier, 0
	.set _ZL20rocblas_trmvt_kernelILi512ELb1ELb1ELb1EPK19rocblas_complex_numIfEPS1_S4_EviT3_lllT4_lllT5_li.private_seg_size, 0
	.set _ZL20rocblas_trmvt_kernelILi512ELb1ELb1ELb1EPK19rocblas_complex_numIfEPS1_S4_EviT3_lllT4_lllT5_li.uses_vcc, 1
	.set _ZL20rocblas_trmvt_kernelILi512ELb1ELb1ELb1EPK19rocblas_complex_numIfEPS1_S4_EviT3_lllT4_lllT5_li.uses_flat_scratch, 0
	.set _ZL20rocblas_trmvt_kernelILi512ELb1ELb1ELb1EPK19rocblas_complex_numIfEPS1_S4_EviT3_lllT4_lllT5_li.has_dyn_sized_stack, 0
	.set _ZL20rocblas_trmvt_kernelILi512ELb1ELb1ELb1EPK19rocblas_complex_numIfEPS1_S4_EviT3_lllT4_lllT5_li.has_recursion, 0
	.set _ZL20rocblas_trmvt_kernelILi512ELb1ELb1ELb1EPK19rocblas_complex_numIfEPS1_S4_EviT3_lllT4_lllT5_li.has_indirect_call, 0
	.section	.AMDGPU.csdata,"",@progbits
; Kernel info:
; codeLenInByte = 1252
; TotalNumSgprs: 29
; NumVgprs: 13
; ScratchSize: 0
; MemoryBound: 0
; FloatMode: 240
; IeeeMode: 1
; LDSByteSize: 256 bytes/workgroup (compile time only)
; SGPRBlocks: 0
; VGPRBlocks: 1
; NumSGPRsForWavesPerEU: 29
; NumVGPRsForWavesPerEU: 13
; Occupancy: 16
; WaveLimiterHint : 0
; COMPUTE_PGM_RSRC2:SCRATCH_EN: 0
; COMPUTE_PGM_RSRC2:USER_SGPR: 6
; COMPUTE_PGM_RSRC2:TRAP_HANDLER: 0
; COMPUTE_PGM_RSRC2:TGID_X_EN: 1
; COMPUTE_PGM_RSRC2:TGID_Y_EN: 0
; COMPUTE_PGM_RSRC2:TGID_Z_EN: 1
; COMPUTE_PGM_RSRC2:TIDIG_COMP_CNT: 0
	.section	.text._ZL20rocblas_trmvn_kernelILi64ELi16ELb1ELb0EPK19rocblas_complex_numIfEPS1_S4_EviT3_lllT4_lllT5_li,"axG",@progbits,_ZL20rocblas_trmvn_kernelILi64ELi16ELb1ELb0EPK19rocblas_complex_numIfEPS1_S4_EviT3_lllT4_lllT5_li,comdat
	.globl	_ZL20rocblas_trmvn_kernelILi64ELi16ELb1ELb0EPK19rocblas_complex_numIfEPS1_S4_EviT3_lllT4_lllT5_li ; -- Begin function _ZL20rocblas_trmvn_kernelILi64ELi16ELb1ELb0EPK19rocblas_complex_numIfEPS1_S4_EviT3_lllT4_lllT5_li
	.p2align	8
	.type	_ZL20rocblas_trmvn_kernelILi64ELi16ELb1ELb0EPK19rocblas_complex_numIfEPS1_S4_EviT3_lllT4_lllT5_li,@function
_ZL20rocblas_trmvn_kernelILi64ELi16ELb1ELb0EPK19rocblas_complex_numIfEPS1_S4_EviT3_lllT4_lllT5_li: ; @_ZL20rocblas_trmvn_kernelILi64ELi16ELb1ELb0EPK19rocblas_complex_numIfEPS1_S4_EviT3_lllT4_lllT5_li
; %bb.0:
	s_clause 0x1
	s_load_dwordx16 s[8:23], s[4:5], 0x8
	s_load_dword s24, s[4:5], 0x0
	v_lshl_add_u32 v2, s6, 6, v0
	v_mov_b32_e32 v4, 0
	v_cmp_eq_u32_e64 s0, 0, v1
	v_mov_b32_e32 v5, v4
	s_waitcnt lgkmcnt(0)
	s_mul_i32 s1, s15, s7
	v_cmp_gt_i32_e32 vcc_lo, s24, v2
	s_mul_hi_u32 s3, s14, s7
	s_mul_i32 s2, s14, s7
	s_mul_i32 s6, s23, s7
	s_mul_hi_u32 s14, s22, s7
	s_add_i32 s3, s3, s1
	s_add_i32 s15, s14, s6
	s_mul_i32 s14, s22, s7
	s_and_b32 s0, s0, vcc_lo
	s_and_saveexec_b32 s1, s0
	s_cbranch_execz .LBB33_2
; %bb.1:
	v_ashrrev_i32_e32 v3, 31, v2
	v_mul_lo_u32 v8, v2, s13
	v_mul_lo_u32 v10, s21, v2
	v_mad_u64_u32 v[6:7], null, s20, v2, 0
	v_mul_lo_u32 v9, v3, s12
	v_mad_u64_u32 v[4:5], null, v2, s12, v[2:3]
	v_mul_lo_u32 v3, s20, v3
	s_lshl_b64 s[22:23], s[2:3], 3
	s_add_u32 s0, s8, s22
	s_addc_u32 s6, s9, s23
	s_lshl_b64 s[22:23], s[10:11], 3
	v_add3_u32 v5, v9, v5, v8
	s_add_u32 s0, s0, s22
	v_add3_u32 v7, v7, v3, v10
	s_addc_u32 s6, s6, s23
	s_lshl_b64 s[22:23], s[14:15], 3
	v_lshlrev_b64 v[3:4], 3, v[4:5]
	s_add_u32 s25, s16, s22
	v_lshlrev_b64 v[5:6], 3, v[6:7]
	s_addc_u32 s26, s17, s23
	s_lshl_b64 s[22:23], s[18:19], 3
	s_add_u32 s22, s25, s22
	v_add_co_u32 v3, s0, s0, v3
	s_addc_u32 s23, s26, s23
	v_add_co_ci_u32_e64 v4, null, s6, v4, s0
	v_add_co_u32 v5, s0, s22, v5
	v_add_co_ci_u32_e64 v6, null, s23, v6, s0
	global_load_dwordx2 v[3:4], v[3:4], off
	global_load_dwordx2 v[6:7], v[5:6], off
	s_waitcnt vmcnt(0)
	v_mul_f32_e32 v8, v7, v4
	v_mul_f32_e32 v5, v6, v4
	v_fma_f32 v4, v6, v3, -v8
	v_fmac_f32_e32 v5, v7, v3
.LBB33_2:
	s_or_b32 exec_lo, exec_lo, s1
	s_load_dword s6, s[4:5], 0x6c
	s_mov_b32 s22, exec_lo
	v_cmpx_gt_i32_e64 s24, v1
	s_cbranch_execz .LBB33_8
; %bb.3:
	v_mad_u64_u32 v[6:7], null, s12, v1, 0
	v_mad_u64_u32 v[8:9], null, s20, v1, 0
	s_lshl_b64 s[0:1], s[18:19], 3
	s_lshl_b64 s[14:15], s[14:15], 3
	s_add_u32 s0, s16, s0
	v_ashrrev_i32_e32 v3, 31, v2
	s_addc_u32 s1, s17, s1
	s_add_u32 s16, s0, s14
	v_mad_u64_u32 v[10:11], null, s13, v1, v[7:8]
	s_addc_u32 s17, s1, s15
	s_lshl_b64 s[0:1], s[2:3], 3
	s_lshl_b64 s[2:3], s[10:11], 3
	;; [unrolled: 1-line block ×3, first 2 shown]
	s_add_u32 s0, s2, s0
	s_addc_u32 s1, s3, s1
	v_mad_u64_u32 v[11:12], null, s21, v1, v[9:10]
	v_mov_b32_e32 v7, v10
	s_lshl_b64 s[2:3], s[12:13], 7
	v_lshlrev_b64 v[6:7], 3, v[6:7]
	v_mov_b32_e32 v9, v11
	v_lshlrev_b64 v[10:11], 3, v[2:3]
	v_add_co_u32 v3, s0, s0, v6
	v_lshlrev_b64 v[8:9], 3, v[8:9]
	v_add_co_ci_u32_e64 v6, null, s1, v7, s0
	v_add_co_u32 v7, s0, s16, v8
	v_add_co_ci_u32_e64 v8, null, s17, v9, s0
	v_add_co_u32 v3, s0, v3, v10
	;; [unrolled: 2-line block ×4, first 2 shown]
	v_add_co_ci_u32_e64 v9, null, s9, v9, s0
	v_mov_b32_e32 v3, v1
	s_mov_b32 s8, 0
	s_inst_prefetch 0x1
	s_branch .LBB33_5
	.p2align	6
.LBB33_4:                               ;   in Loop: Header=BB33_5 Depth=1
	s_or_b32 exec_lo, exec_lo, s0
	v_add_nc_u32_e32 v3, 16, v3
	v_add_co_u32 v6, s0, v6, s14
	v_add_co_ci_u32_e64 v7, null, s15, v7, s0
	v_cmp_le_i32_e64 s0, s24, v3
	v_add_co_u32 v8, s1, v8, s2
	v_add_co_ci_u32_e64 v9, null, s3, v9, s1
	s_or_b32 s8, s0, s8
	s_andn2_b32 exec_lo, exec_lo, s8
	s_cbranch_execz .LBB33_7
.LBB33_5:                               ; =>This Inner Loop Header: Depth=1
	v_cmp_lt_i32_e64 s0, v3, v2
	s_and_b32 s1, vcc_lo, s0
	s_and_saveexec_b32 s0, s1
	s_cbranch_execz .LBB33_4
; %bb.6:                                ;   in Loop: Header=BB33_5 Depth=1
	global_load_dwordx2 v[10:11], v[8:9], off
	global_load_dwordx2 v[12:13], v[6:7], off offset:-4
	s_waitcnt vmcnt(0)
	v_mul_f32_e32 v14, v13, v11
	v_mul_f32_e32 v11, v12, v11
	v_fma_f32 v12, v12, v10, -v14
	v_fmac_f32_e32 v11, v13, v10
	v_add_f32_e32 v4, v4, v12
	v_add_f32_e32 v5, v5, v11
	s_branch .LBB33_4
.LBB33_7:
	s_inst_prefetch 0x2
	s_or_b32 exec_lo, exec_lo, s8
.LBB33_8:
	s_or_b32 exec_lo, exec_lo, s22
	v_lshlrev_b32_e32 v3, 3, v0
	s_waitcnt lgkmcnt(0)
	s_and_b32 s1, 0xffff, s6
	s_mov_b32 s2, exec_lo
	v_mad_u32_u24 v0, v1, s1, v0
	v_lshl_add_u32 v6, v1, 9, v3
	ds_write_b64 v6, v[4:5]
	s_waitcnt lgkmcnt(0)
	s_barrier
	buffer_gl0_inv
	v_cmpx_gt_u32_e32 64, v0
	s_cbranch_execz .LBB33_11
; %bb.9:
	v_mul_u32_u24_e32 v0, s1, v1
	v_lshl_add_u32 v0, v0, 3, v3
	ds_read2st64_b64 v[3:6], v0 offset1:1
	ds_read2st64_b64 v[7:10], v0 offset0:2 offset1:3
	ds_read2st64_b64 v[11:14], v0 offset0:4 offset1:5
	s_waitcnt lgkmcnt(2)
	v_add_f32_e32 v1, v3, v5
	v_add_f32_e32 v15, v4, v6
	ds_read2st64_b64 v[3:6], v0 offset0:6 offset1:7
	s_waitcnt lgkmcnt(2)
	v_add_f32_e32 v1, v1, v7
	v_add_f32_e32 v7, v15, v8
	v_add_f32_e32 v1, v1, v9
	v_add_f32_e32 v15, v7, v10
	ds_read2st64_b64 v[7:10], v0 offset0:8 offset1:9
	s_waitcnt lgkmcnt(2)
	v_add_f32_e32 v1, v1, v11
	v_add_f32_e32 v11, v15, v12
	;; [unrolled: 6-line block ×5, first 2 shown]
	v_add_f32_e32 v1, v1, v13
	v_add_f32_e32 v11, v11, v14
	s_waitcnt lgkmcnt(1)
	v_add_f32_e32 v1, v1, v3
	v_add_f32_e32 v3, v11, v4
	;; [unrolled: 1-line block ×4, first 2 shown]
	s_waitcnt lgkmcnt(0)
	v_add_f32_e32 v1, v1, v7
	v_add_f32_e32 v4, v3, v8
	;; [unrolled: 1-line block ×4, first 2 shown]
	ds_write_b64 v0, v[3:4]
	s_and_b32 exec_lo, exec_lo, vcc_lo
	s_cbranch_execz .LBB33_11
; %bb.10:
	s_load_dwordx4 s[0:3], s[4:5], 0x48
	ds_read_b64 v[0:1], v0
	v_ashrrev_i32_e32 v3, 31, v2
	v_lshlrev_b64 v[2:3], 3, v[2:3]
	s_waitcnt lgkmcnt(0)
	s_mul_i32 s3, s3, s7
	s_mul_hi_u32 s4, s2, s7
	s_mul_i32 s2, s2, s7
	s_add_i32 s3, s4, s3
	s_lshl_b64 s[2:3], s[2:3], 3
	s_add_u32 s0, s0, s2
	s_addc_u32 s1, s1, s3
	v_add_co_u32 v2, vcc_lo, s0, v2
	v_add_co_ci_u32_e64 v3, null, s1, v3, vcc_lo
	global_store_dwordx2 v[2:3], v[0:1], off
.LBB33_11:
	s_endpgm
	.section	.rodata,"a",@progbits
	.p2align	6, 0x0
	.amdhsa_kernel _ZL20rocblas_trmvn_kernelILi64ELi16ELb1ELb0EPK19rocblas_complex_numIfEPS1_S4_EviT3_lllT4_lllT5_li
		.amdhsa_group_segment_fixed_size 8192
		.amdhsa_private_segment_fixed_size 0
		.amdhsa_kernarg_size 352
		.amdhsa_user_sgpr_count 6
		.amdhsa_user_sgpr_private_segment_buffer 1
		.amdhsa_user_sgpr_dispatch_ptr 0
		.amdhsa_user_sgpr_queue_ptr 0
		.amdhsa_user_sgpr_kernarg_segment_ptr 1
		.amdhsa_user_sgpr_dispatch_id 0
		.amdhsa_user_sgpr_flat_scratch_init 0
		.amdhsa_user_sgpr_private_segment_size 0
		.amdhsa_wavefront_size32 1
		.amdhsa_uses_dynamic_stack 0
		.amdhsa_system_sgpr_private_segment_wavefront_offset 0
		.amdhsa_system_sgpr_workgroup_id_x 1
		.amdhsa_system_sgpr_workgroup_id_y 0
		.amdhsa_system_sgpr_workgroup_id_z 1
		.amdhsa_system_sgpr_workgroup_info 0
		.amdhsa_system_vgpr_workitem_id 1
		.amdhsa_next_free_vgpr 16
		.amdhsa_next_free_sgpr 27
		.amdhsa_reserve_vcc 1
		.amdhsa_reserve_flat_scratch 0
		.amdhsa_float_round_mode_32 0
		.amdhsa_float_round_mode_16_64 0
		.amdhsa_float_denorm_mode_32 3
		.amdhsa_float_denorm_mode_16_64 3
		.amdhsa_dx10_clamp 1
		.amdhsa_ieee_mode 1
		.amdhsa_fp16_overflow 0
		.amdhsa_workgroup_processor_mode 1
		.amdhsa_memory_ordered 1
		.amdhsa_forward_progress 1
		.amdhsa_shared_vgpr_count 0
		.amdhsa_exception_fp_ieee_invalid_op 0
		.amdhsa_exception_fp_denorm_src 0
		.amdhsa_exception_fp_ieee_div_zero 0
		.amdhsa_exception_fp_ieee_overflow 0
		.amdhsa_exception_fp_ieee_underflow 0
		.amdhsa_exception_fp_ieee_inexact 0
		.amdhsa_exception_int_div_zero 0
	.end_amdhsa_kernel
	.section	.text._ZL20rocblas_trmvn_kernelILi64ELi16ELb1ELb0EPK19rocblas_complex_numIfEPS1_S4_EviT3_lllT4_lllT5_li,"axG",@progbits,_ZL20rocblas_trmvn_kernelILi64ELi16ELb1ELb0EPK19rocblas_complex_numIfEPS1_S4_EviT3_lllT4_lllT5_li,comdat
.Lfunc_end33:
	.size	_ZL20rocblas_trmvn_kernelILi64ELi16ELb1ELb0EPK19rocblas_complex_numIfEPS1_S4_EviT3_lllT4_lllT5_li, .Lfunc_end33-_ZL20rocblas_trmvn_kernelILi64ELi16ELb1ELb0EPK19rocblas_complex_numIfEPS1_S4_EviT3_lllT4_lllT5_li
                                        ; -- End function
	.set _ZL20rocblas_trmvn_kernelILi64ELi16ELb1ELb0EPK19rocblas_complex_numIfEPS1_S4_EviT3_lllT4_lllT5_li.num_vgpr, 16
	.set _ZL20rocblas_trmvn_kernelILi64ELi16ELb1ELb0EPK19rocblas_complex_numIfEPS1_S4_EviT3_lllT4_lllT5_li.num_agpr, 0
	.set _ZL20rocblas_trmvn_kernelILi64ELi16ELb1ELb0EPK19rocblas_complex_numIfEPS1_S4_EviT3_lllT4_lllT5_li.numbered_sgpr, 27
	.set _ZL20rocblas_trmvn_kernelILi64ELi16ELb1ELb0EPK19rocblas_complex_numIfEPS1_S4_EviT3_lllT4_lllT5_li.num_named_barrier, 0
	.set _ZL20rocblas_trmvn_kernelILi64ELi16ELb1ELb0EPK19rocblas_complex_numIfEPS1_S4_EviT3_lllT4_lllT5_li.private_seg_size, 0
	.set _ZL20rocblas_trmvn_kernelILi64ELi16ELb1ELb0EPK19rocblas_complex_numIfEPS1_S4_EviT3_lllT4_lllT5_li.uses_vcc, 1
	.set _ZL20rocblas_trmvn_kernelILi64ELi16ELb1ELb0EPK19rocblas_complex_numIfEPS1_S4_EviT3_lllT4_lllT5_li.uses_flat_scratch, 0
	.set _ZL20rocblas_trmvn_kernelILi64ELi16ELb1ELb0EPK19rocblas_complex_numIfEPS1_S4_EviT3_lllT4_lllT5_li.has_dyn_sized_stack, 0
	.set _ZL20rocblas_trmvn_kernelILi64ELi16ELb1ELb0EPK19rocblas_complex_numIfEPS1_S4_EviT3_lllT4_lllT5_li.has_recursion, 0
	.set _ZL20rocblas_trmvn_kernelILi64ELi16ELb1ELb0EPK19rocblas_complex_numIfEPS1_S4_EviT3_lllT4_lllT5_li.has_indirect_call, 0
	.section	.AMDGPU.csdata,"",@progbits
; Kernel info:
; codeLenInByte = 1120
; TotalNumSgprs: 29
; NumVgprs: 16
; ScratchSize: 0
; MemoryBound: 0
; FloatMode: 240
; IeeeMode: 1
; LDSByteSize: 8192 bytes/workgroup (compile time only)
; SGPRBlocks: 0
; VGPRBlocks: 1
; NumSGPRsForWavesPerEU: 29
; NumVGPRsForWavesPerEU: 16
; Occupancy: 16
; WaveLimiterHint : 0
; COMPUTE_PGM_RSRC2:SCRATCH_EN: 0
; COMPUTE_PGM_RSRC2:USER_SGPR: 6
; COMPUTE_PGM_RSRC2:TRAP_HANDLER: 0
; COMPUTE_PGM_RSRC2:TGID_X_EN: 1
; COMPUTE_PGM_RSRC2:TGID_Y_EN: 0
; COMPUTE_PGM_RSRC2:TGID_Z_EN: 1
; COMPUTE_PGM_RSRC2:TIDIG_COMP_CNT: 1
	.section	.text._ZL20rocblas_trmvt_kernelILi512ELb1ELb0ELb0EPK19rocblas_complex_numIfEPS1_S4_EviT3_lllT4_lllT5_li,"axG",@progbits,_ZL20rocblas_trmvt_kernelILi512ELb1ELb0ELb0EPK19rocblas_complex_numIfEPS1_S4_EviT3_lllT4_lllT5_li,comdat
	.globl	_ZL20rocblas_trmvt_kernelILi512ELb1ELb0ELb0EPK19rocblas_complex_numIfEPS1_S4_EviT3_lllT4_lllT5_li ; -- Begin function _ZL20rocblas_trmvt_kernelILi512ELb1ELb0ELb0EPK19rocblas_complex_numIfEPS1_S4_EviT3_lllT4_lllT5_li
	.p2align	8
	.type	_ZL20rocblas_trmvt_kernelILi512ELb1ELb0ELb0EPK19rocblas_complex_numIfEPS1_S4_EviT3_lllT4_lllT5_li,@function
_ZL20rocblas_trmvt_kernelILi512ELb1ELb0ELb0EPK19rocblas_complex_numIfEPS1_S4_EviT3_lllT4_lllT5_li: ; @_ZL20rocblas_trmvt_kernelILi512ELb1ELb0ELb0EPK19rocblas_complex_numIfEPS1_S4_EviT3_lllT4_lllT5_li
; %bb.0:
	s_clause 0x1
	s_load_dwordx16 s[8:23], s[4:5], 0x8
	s_load_dword s3, s[4:5], 0x0
	s_mov_b32 s0, s7
	v_mov_b32_e32 v5, 0
	v_cmp_eq_u32_e32 vcc_lo, 0, v0
	v_mov_b32_e32 v6, 0
	s_waitcnt lgkmcnt(0)
	s_mul_i32 s1, s15, s7
	s_mul_hi_u32 s2, s14, s7
	s_mul_i32 s14, s14, s7
	s_add_i32 s15, s2, s1
	v_cmp_gt_i32_e64 s1, s3, v0
	s_lshl_b64 s[14:15], s[14:15], 3
	s_mul_i32 s23, s23, s7
	s_add_u32 s2, s8, s14
	s_mul_hi_u32 s24, s22, s7
	v_cndmask_b32_e64 v1, 0, v0, s1
	s_addc_u32 s7, s9, s15
	s_lshl_b64 s[8:9], s[10:11], 3
	s_mul_hi_u32 s10, s12, s6
	s_add_u32 s2, s2, s8
	s_addc_u32 s11, s7, s9
	s_ashr_i32 s7, s6, 31
	v_lshlrev_b32_e32 v1, 3, v1
	s_mul_i32 s8, s12, s7
	s_mul_i32 s9, s13, s6
	s_add_i32 s10, s10, s8
	s_mul_i32 s8, s12, s6
	v_add_co_u32 v1, s2, s2, v1
	s_add_i32 s9, s10, s9
	v_add_co_ci_u32_e64 v2, null, s11, 0, s2
	s_lshl_b64 s[8:9], s[8:9], 3
	v_add_co_u32 v1, s2, v1, s8
	v_add_co_ci_u32_e64 v2, null, s9, v2, s2
	s_add_i32 s9, s24, s23
	s_mul_i32 s8, s22, s0
	s_and_saveexec_b32 s10, vcc_lo
	s_cbranch_execz .LBB34_2
; %bb.1:
	s_lshl_b64 s[12:13], s[8:9], 3
	s_add_u32 s2, s16, s12
	s_addc_u32 s11, s17, s13
	s_lshl_b64 s[12:13], s[18:19], 3
	s_add_u32 s14, s2, s12
	s_addc_u32 s11, s11, s13
	s_lshl_b64 s[12:13], s[6:7], 3
	v_add_co_u32 v3, s2, v1, s12
	v_add_co_ci_u32_e64 v4, null, s13, v2, s2
	s_mul_i32 s2, s20, s7
	s_mul_hi_u32 s12, s20, s6
	s_mul_i32 s13, s21, s6
	global_load_dwordx2 v[3:4], v[3:4], off
	s_add_i32 s2, s12, s2
	s_mul_i32 s12, s20, s6
	s_add_i32 s13, s2, s13
	s_lshl_b64 s[12:13], s[12:13], 3
	s_add_u32 s12, s14, s12
	s_addc_u32 s13, s11, s13
	s_load_dwordx2 s[12:13], s[12:13], 0x0
	s_waitcnt vmcnt(0) lgkmcnt(0)
	v_mul_f32_e32 v5, s13, v4
	v_mul_f32_e32 v4, s12, v4
	v_fma_f32 v5, s12, v3, -v5
	v_fmac_f32_e32 v4, s13, v3
	v_add_f32_e32 v5, 0, v5
	v_add_f32_e32 v6, 0, v4
.LBB34_2:
	s_or_b32 exec_lo, exec_lo, s10
	s_and_saveexec_b32 s10, s1
	s_cbranch_execz .LBB34_8
; %bb.3:
	v_mad_u64_u32 v[3:4], null, s20, v0, 0
	s_lshl_b64 s[12:13], s[18:19], 3
	s_lshl_b64 s[8:9], s[8:9], 3
	s_add_u32 s1, s16, s12
	s_addc_u32 s2, s17, s13
	s_add_u32 s1, s1, s8
	s_addc_u32 s2, s2, s9
	v_mad_u64_u32 v[7:8], null, s21, v0, v[4:5]
	s_lshl_b64 s[8:9], s[20:21], 12
	s_mov_b32 s11, 0
	v_mov_b32_e32 v4, v7
	v_mov_b32_e32 v7, v0
	v_lshlrev_b64 v[3:4], 3, v[3:4]
	v_add_co_u32 v3, s1, s1, v3
	v_add_co_ci_u32_e64 v4, null, s2, v4, s1
	v_add_co_u32 v3, s1, v3, 4
	v_add_co_ci_u32_e64 v4, null, 0, v4, s1
	s_inst_prefetch 0x1
	s_branch .LBB34_5
	.p2align	6
.LBB34_4:                               ;   in Loop: Header=BB34_5 Depth=1
	s_or_b32 exec_lo, exec_lo, s2
	v_add_nc_u32_e32 v7, 0x200, v7
	v_add_co_u32 v1, s1, 0x1000, v1
	v_add_co_ci_u32_e64 v2, null, 0, v2, s1
	v_cmp_le_i32_e64 s1, s3, v7
	v_add_co_u32 v3, s2, v3, s8
	v_add_co_ci_u32_e64 v4, null, s9, v4, s2
	s_or_b32 s11, s1, s11
	s_andn2_b32 exec_lo, exec_lo, s11
	s_cbranch_execz .LBB34_7
.LBB34_5:                               ; =>This Inner Loop Header: Depth=1
	s_mov_b32 s2, exec_lo
	v_cmpx_lt_i32_e64 s6, v7
	s_cbranch_execz .LBB34_4
; %bb.6:                                ;   in Loop: Header=BB34_5 Depth=1
	global_load_dwordx2 v[8:9], v[1:2], off
	global_load_dwordx2 v[10:11], v[3:4], off offset:-4
	s_waitcnt vmcnt(0)
	v_mul_f32_e32 v12, v11, v9
	v_mul_f32_e32 v9, v10, v9
	v_fma_f32 v10, v10, v8, -v12
	v_fmac_f32_e32 v9, v11, v8
	v_add_f32_e32 v5, v5, v10
	v_add_f32_e32 v6, v6, v9
	s_branch .LBB34_4
.LBB34_7:
	s_inst_prefetch 0x2
	s_or_b32 exec_lo, exec_lo, s11
.LBB34_8:
	s_or_b32 exec_lo, exec_lo, s10
	v_and_b32_e32 v1, 31, v0
	v_cmp_gt_u32_e64 s1, 32, v0
	v_lshlrev_b32_e32 v2, 3, v1
	s_and_saveexec_b32 s2, s1
; %bb.9:
	v_mov_b32_e32 v3, 0
	v_mov_b32_e32 v4, v3
	ds_write_b64 v2, v[3:4]
; %bb.10:
	s_or_b32 exec_lo, exec_lo, s2
	v_mbcnt_lo_u32_b32 v7, -1, 0
	s_mov_b32 s3, exec_lo
	s_waitcnt lgkmcnt(0)
	s_barrier
	buffer_gl0_inv
	v_lshl_or_b32 v3, v7, 2, 64
	v_cmp_gt_u32_e64 s2, 24, v7
	ds_bpermute_b32 v4, v3, v5
	ds_bpermute_b32 v8, v3, v6
	v_cndmask_b32_e64 v3, 0, 8, s2
	v_cmp_gt_u32_e64 s2, 28, v7
	v_add_lshl_u32 v3, v3, v7, 2
	s_waitcnt lgkmcnt(1)
	v_add_f32_e32 v5, v5, v4
	s_waitcnt lgkmcnt(0)
	v_add_f32_e32 v6, v6, v8
	v_cndmask_b32_e64 v4, 0, 4, s2
	v_cmp_gt_u32_e64 s2, 30, v7
	ds_bpermute_b32 v8, v3, v5
	ds_bpermute_b32 v9, v3, v6
	v_add_lshl_u32 v4, v4, v7, 2
	s_waitcnt lgkmcnt(1)
	v_add_f32_e32 v8, v5, v8
	s_waitcnt lgkmcnt(0)
	v_add_f32_e32 v6, v6, v9
	v_cndmask_b32_e64 v5, 0, 2, s2
	v_cmp_ne_u32_e64 s2, 31, v7
	ds_bpermute_b32 v9, v4, v8
	ds_bpermute_b32 v10, v4, v6
	v_add_lshl_u32 v5, v5, v7, 2
	s_waitcnt lgkmcnt(1)
	v_add_f32_e32 v8, v8, v9
	s_waitcnt lgkmcnt(0)
	v_add_f32_e32 v9, v6, v10
	v_add_co_ci_u32_e64 v6, null, 0, v7, s2
	ds_bpermute_b32 v10, v5, v8
	ds_bpermute_b32 v11, v5, v9
	v_lshlrev_b32_e32 v6, 2, v6
	s_waitcnt lgkmcnt(1)
	v_add_f32_e32 v7, v8, v10
	s_waitcnt lgkmcnt(0)
	v_add_f32_e32 v9, v9, v11
	ds_bpermute_b32 v8, v6, v7
	ds_bpermute_b32 v10, v6, v9
	v_cmpx_eq_u32_e32 0, v1
	s_cbranch_execz .LBB34_12
; %bb.11:
	v_lshrrev_b32_e32 v1, 2, v0
	s_waitcnt lgkmcnt(0)
	v_add_f32_e32 v9, v9, v10
	v_add_f32_e32 v8, v7, v8
	v_and_b32_e32 v1, 0x78, v1
	ds_write_b64 v1, v[8:9]
.LBB34_12:
	s_or_b32 exec_lo, exec_lo, s3
	v_cmp_gt_u32_e64 s2, 16, v0
	v_mov_b32_e32 v1, 0
	v_mov_b32_e32 v0, 0
	s_waitcnt lgkmcnt(0)
	s_barrier
	buffer_gl0_inv
	s_and_saveexec_b32 s3, s2
	s_cbranch_execnz .LBB34_16
; %bb.13:
	s_or_b32 exec_lo, exec_lo, s3
	s_and_saveexec_b32 s2, s1
	s_cbranch_execnz .LBB34_17
.LBB34_14:
	s_or_b32 exec_lo, exec_lo, s2
	s_and_saveexec_b32 s1, vcc_lo
	s_cbranch_execnz .LBB34_18
.LBB34_15:
	s_endpgm
.LBB34_16:
	ds_read_b64 v[0:1], v2
	s_or_b32 exec_lo, exec_lo, s3
	s_and_saveexec_b32 s2, s1
	s_cbranch_execz .LBB34_14
.LBB34_17:
	s_waitcnt lgkmcnt(0)
	ds_bpermute_b32 v2, v3, v0
	ds_bpermute_b32 v3, v3, v1
	s_waitcnt lgkmcnt(1)
	v_add_f32_e32 v0, v0, v2
	s_waitcnt lgkmcnt(0)
	v_add_f32_e32 v1, v1, v3
	ds_bpermute_b32 v2, v4, v0
	ds_bpermute_b32 v3, v4, v1
	s_waitcnt lgkmcnt(1)
	v_add_f32_e32 v0, v0, v2
	s_waitcnt lgkmcnt(0)
	v_add_f32_e32 v1, v1, v3
	;; [unrolled: 6-line block ×4, first 2 shown]
	s_or_b32 exec_lo, exec_lo, s2
	s_and_saveexec_b32 s1, vcc_lo
	s_cbranch_execz .LBB34_15
.LBB34_18:
	s_load_dwordx4 s[8:11], s[4:5], 0x48
	v_mov_b32_e32 v2, 0
	s_waitcnt lgkmcnt(0)
	s_mul_i32 s1, s11, s0
	s_mul_hi_u32 s2, s10, s0
	s_mul_i32 s0, s10, s0
	s_add_i32 s1, s2, s1
	s_lshl_b64 s[0:1], s[0:1], 3
	s_add_u32 s2, s8, s0
	s_addc_u32 s3, s9, s1
	s_lshl_b64 s[0:1], s[6:7], 3
	s_add_u32 s0, s2, s0
	s_addc_u32 s1, s3, s1
	global_store_dwordx2 v2, v[0:1], s[0:1]
	s_endpgm
	.section	.rodata,"a",@progbits
	.p2align	6, 0x0
	.amdhsa_kernel _ZL20rocblas_trmvt_kernelILi512ELb1ELb0ELb0EPK19rocblas_complex_numIfEPS1_S4_EviT3_lllT4_lllT5_li
		.amdhsa_group_segment_fixed_size 256
		.amdhsa_private_segment_fixed_size 0
		.amdhsa_kernarg_size 92
		.amdhsa_user_sgpr_count 6
		.amdhsa_user_sgpr_private_segment_buffer 1
		.amdhsa_user_sgpr_dispatch_ptr 0
		.amdhsa_user_sgpr_queue_ptr 0
		.amdhsa_user_sgpr_kernarg_segment_ptr 1
		.amdhsa_user_sgpr_dispatch_id 0
		.amdhsa_user_sgpr_flat_scratch_init 0
		.amdhsa_user_sgpr_private_segment_size 0
		.amdhsa_wavefront_size32 1
		.amdhsa_uses_dynamic_stack 0
		.amdhsa_system_sgpr_private_segment_wavefront_offset 0
		.amdhsa_system_sgpr_workgroup_id_x 1
		.amdhsa_system_sgpr_workgroup_id_y 0
		.amdhsa_system_sgpr_workgroup_id_z 1
		.amdhsa_system_sgpr_workgroup_info 0
		.amdhsa_system_vgpr_workitem_id 0
		.amdhsa_next_free_vgpr 13
		.amdhsa_next_free_sgpr 25
		.amdhsa_reserve_vcc 1
		.amdhsa_reserve_flat_scratch 0
		.amdhsa_float_round_mode_32 0
		.amdhsa_float_round_mode_16_64 0
		.amdhsa_float_denorm_mode_32 3
		.amdhsa_float_denorm_mode_16_64 3
		.amdhsa_dx10_clamp 1
		.amdhsa_ieee_mode 1
		.amdhsa_fp16_overflow 0
		.amdhsa_workgroup_processor_mode 1
		.amdhsa_memory_ordered 1
		.amdhsa_forward_progress 1
		.amdhsa_shared_vgpr_count 0
		.amdhsa_exception_fp_ieee_invalid_op 0
		.amdhsa_exception_fp_denorm_src 0
		.amdhsa_exception_fp_ieee_div_zero 0
		.amdhsa_exception_fp_ieee_overflow 0
		.amdhsa_exception_fp_ieee_underflow 0
		.amdhsa_exception_fp_ieee_inexact 0
		.amdhsa_exception_int_div_zero 0
	.end_amdhsa_kernel
	.section	.text._ZL20rocblas_trmvt_kernelILi512ELb1ELb0ELb0EPK19rocblas_complex_numIfEPS1_S4_EviT3_lllT4_lllT5_li,"axG",@progbits,_ZL20rocblas_trmvt_kernelILi512ELb1ELb0ELb0EPK19rocblas_complex_numIfEPS1_S4_EviT3_lllT4_lllT5_li,comdat
.Lfunc_end34:
	.size	_ZL20rocblas_trmvt_kernelILi512ELb1ELb0ELb0EPK19rocblas_complex_numIfEPS1_S4_EviT3_lllT4_lllT5_li, .Lfunc_end34-_ZL20rocblas_trmvt_kernelILi512ELb1ELb0ELb0EPK19rocblas_complex_numIfEPS1_S4_EviT3_lllT4_lllT5_li
                                        ; -- End function
	.set _ZL20rocblas_trmvt_kernelILi512ELb1ELb0ELb0EPK19rocblas_complex_numIfEPS1_S4_EviT3_lllT4_lllT5_li.num_vgpr, 13
	.set _ZL20rocblas_trmvt_kernelILi512ELb1ELb0ELb0EPK19rocblas_complex_numIfEPS1_S4_EviT3_lllT4_lllT5_li.num_agpr, 0
	.set _ZL20rocblas_trmvt_kernelILi512ELb1ELb0ELb0EPK19rocblas_complex_numIfEPS1_S4_EviT3_lllT4_lllT5_li.numbered_sgpr, 25
	.set _ZL20rocblas_trmvt_kernelILi512ELb1ELb0ELb0EPK19rocblas_complex_numIfEPS1_S4_EviT3_lllT4_lllT5_li.num_named_barrier, 0
	.set _ZL20rocblas_trmvt_kernelILi512ELb1ELb0ELb0EPK19rocblas_complex_numIfEPS1_S4_EviT3_lllT4_lllT5_li.private_seg_size, 0
	.set _ZL20rocblas_trmvt_kernelILi512ELb1ELb0ELb0EPK19rocblas_complex_numIfEPS1_S4_EviT3_lllT4_lllT5_li.uses_vcc, 1
	.set _ZL20rocblas_trmvt_kernelILi512ELb1ELb0ELb0EPK19rocblas_complex_numIfEPS1_S4_EviT3_lllT4_lllT5_li.uses_flat_scratch, 0
	.set _ZL20rocblas_trmvt_kernelILi512ELb1ELb0ELb0EPK19rocblas_complex_numIfEPS1_S4_EviT3_lllT4_lllT5_li.has_dyn_sized_stack, 0
	.set _ZL20rocblas_trmvt_kernelILi512ELb1ELb0ELb0EPK19rocblas_complex_numIfEPS1_S4_EviT3_lllT4_lllT5_li.has_recursion, 0
	.set _ZL20rocblas_trmvt_kernelILi512ELb1ELb0ELb0EPK19rocblas_complex_numIfEPS1_S4_EviT3_lllT4_lllT5_li.has_indirect_call, 0
	.section	.AMDGPU.csdata,"",@progbits
; Kernel info:
; codeLenInByte = 1252
; TotalNumSgprs: 27
; NumVgprs: 13
; ScratchSize: 0
; MemoryBound: 0
; FloatMode: 240
; IeeeMode: 1
; LDSByteSize: 256 bytes/workgroup (compile time only)
; SGPRBlocks: 0
; VGPRBlocks: 1
; NumSGPRsForWavesPerEU: 27
; NumVGPRsForWavesPerEU: 13
; Occupancy: 16
; WaveLimiterHint : 0
; COMPUTE_PGM_RSRC2:SCRATCH_EN: 0
; COMPUTE_PGM_RSRC2:USER_SGPR: 6
; COMPUTE_PGM_RSRC2:TRAP_HANDLER: 0
; COMPUTE_PGM_RSRC2:TGID_X_EN: 1
; COMPUTE_PGM_RSRC2:TGID_Y_EN: 0
; COMPUTE_PGM_RSRC2:TGID_Z_EN: 1
; COMPUTE_PGM_RSRC2:TIDIG_COMP_CNT: 0
	.section	.text._ZL20rocblas_trmvt_kernelILi512ELb1ELb1ELb0EPK19rocblas_complex_numIfEPS1_S4_EviT3_lllT4_lllT5_li,"axG",@progbits,_ZL20rocblas_trmvt_kernelILi512ELb1ELb1ELb0EPK19rocblas_complex_numIfEPS1_S4_EviT3_lllT4_lllT5_li,comdat
	.globl	_ZL20rocblas_trmvt_kernelILi512ELb1ELb1ELb0EPK19rocblas_complex_numIfEPS1_S4_EviT3_lllT4_lllT5_li ; -- Begin function _ZL20rocblas_trmvt_kernelILi512ELb1ELb1ELb0EPK19rocblas_complex_numIfEPS1_S4_EviT3_lllT4_lllT5_li
	.p2align	8
	.type	_ZL20rocblas_trmvt_kernelILi512ELb1ELb1ELb0EPK19rocblas_complex_numIfEPS1_S4_EviT3_lllT4_lllT5_li,@function
_ZL20rocblas_trmvt_kernelILi512ELb1ELb1ELb0EPK19rocblas_complex_numIfEPS1_S4_EviT3_lllT4_lllT5_li: ; @_ZL20rocblas_trmvt_kernelILi512ELb1ELb1ELb0EPK19rocblas_complex_numIfEPS1_S4_EviT3_lllT4_lllT5_li
; %bb.0:
	s_clause 0x1
	s_load_dwordx16 s[8:23], s[4:5], 0x8
	s_load_dword s3, s[4:5], 0x0
	s_mov_b32 s0, s7
	s_ashr_i32 s7, s6, 31
	v_mov_b32_e32 v5, 0
	v_cmp_eq_u32_e32 vcc_lo, 0, v0
	v_mov_b32_e32 v6, 0
	s_waitcnt lgkmcnt(0)
	s_mul_i32 s2, s15, s0
	v_cmp_gt_i32_e64 s1, s3, v0
	s_mul_hi_u32 s15, s14, s0
	s_mul_hi_u32 s25, s12, s6
	s_mul_i32 s26, s12, s7
	s_mul_i32 s23, s23, s0
	v_cndmask_b32_e64 v1, 0, v0, s1
	s_mul_hi_u32 s24, s22, s0
	s_mul_i32 s13, s13, s6
	s_add_i32 s15, s15, s2
	s_add_i32 s2, s25, s26
	v_lshlrev_b32_e32 v1, 3, v1
	s_mul_i32 s14, s14, s0
	s_add_i32 s23, s24, s23
	s_mul_i32 s22, s22, s0
	s_add_i32 s13, s2, s13
	s_mul_i32 s12, s12, s6
	s_and_saveexec_b32 s24, vcc_lo
	s_cbranch_execz .LBB35_2
; %bb.1:
	s_lshl_b64 s[26:27], s[14:15], 3
	s_add_u32 s2, s8, s26
	s_addc_u32 s25, s9, s27
	s_lshl_b64 s[26:27], s[10:11], 3
	s_add_u32 s2, s2, s26
	s_addc_u32 s25, s25, s27
	s_lshl_b64 s[26:27], s[22:23], 3
	v_add_co_u32 v2, s2, s2, v1
	s_add_u32 s28, s16, s26
	s_addc_u32 s29, s17, s27
	s_lshl_b64 s[26:27], s[18:19], 3
	v_add_co_ci_u32_e64 v3, null, s25, 0, s2
	s_add_u32 s28, s28, s26
	s_addc_u32 s29, s29, s27
	s_lshl_b64 s[26:27], s[12:13], 3
	s_mul_hi_u32 s25, s20, s6
	v_add_co_u32 v2, s2, v2, s26
	v_add_co_ci_u32_e64 v3, null, s27, v3, s2
	s_lshl_b64 s[26:27], s[6:7], 3
	v_add_co_u32 v2, s2, v2, s26
	v_add_co_ci_u32_e64 v3, null, s27, v3, s2
	s_mul_i32 s2, s20, s7
	s_mul_i32 s27, s21, s6
	s_add_i32 s2, s25, s2
	global_load_dwordx2 v[2:3], v[2:3], off
	s_mul_i32 s26, s20, s6
	s_add_i32 s27, s2, s27
	s_lshl_b64 s[26:27], s[26:27], 3
	s_add_u32 s26, s28, s26
	s_addc_u32 s27, s29, s27
	s_load_dwordx2 s[26:27], s[26:27], 0x0
	s_waitcnt vmcnt(0) lgkmcnt(0)
	v_mul_f32_e32 v4, s27, v3
	v_mul_f32_e32 v3, s26, v3
	v_fmac_f32_e32 v4, s26, v2
	v_fma_f32 v2, v2, s27, -v3
	v_add_f32_e32 v5, 0, v4
	v_add_f32_e32 v6, 0, v2
.LBB35_2:
	s_or_b32 exec_lo, exec_lo, s24
	s_and_saveexec_b32 s24, s1
	s_cbranch_execz .LBB35_8
; %bb.3:
	v_mad_u64_u32 v[2:3], null, s20, v0, 0
	s_lshl_b64 s[18:19], s[18:19], 3
	s_lshl_b64 s[22:23], s[22:23], 3
	s_add_u32 s1, s16, s18
	s_addc_u32 s2, s17, s19
	s_add_u32 s1, s1, s22
	s_addc_u32 s2, s2, s23
	v_mad_u64_u32 v[3:4], null, s21, v0, v[3:4]
	s_lshl_b64 s[16:17], s[12:13], 3
	s_lshl_b64 s[14:15], s[14:15], 3
	;; [unrolled: 1-line block ×3, first 2 shown]
	s_add_u32 s14, s16, s14
	s_addc_u32 s15, s17, s15
	s_lshl_b64 s[10:11], s[10:11], 3
	v_lshlrev_b64 v[2:3], 3, v[2:3]
	s_add_u32 s10, s14, s10
	s_addc_u32 s11, s15, s11
	s_add_u32 s8, s8, s10
	s_addc_u32 s9, s9, s11
	v_add_co_u32 v2, s1, s1, v2
	v_add_co_ci_u32_e64 v3, null, s2, v3, s1
	v_add_co_u32 v4, s1, s8, v1
	v_add_co_ci_u32_e64 v7, null, s9, 0, s1
	;; [unrolled: 2-line block ×4, first 2 shown]
	v_mov_b32_e32 v7, v0
	s_mov_b32 s8, 0
	s_inst_prefetch 0x1
	s_branch .LBB35_5
	.p2align	6
.LBB35_4:                               ;   in Loop: Header=BB35_5 Depth=1
	s_or_b32 exec_lo, exec_lo, s2
	v_add_nc_u32_e32 v7, 0x200, v7
	v_add_co_u32 v1, s1, v1, s12
	v_add_co_ci_u32_e64 v2, null, s13, v2, s1
	v_cmp_le_i32_e64 s1, s3, v7
	v_add_co_u32 v3, s2, 0x1000, v3
	v_add_co_ci_u32_e64 v4, null, 0, v4, s2
	s_or_b32 s8, s1, s8
	s_andn2_b32 exec_lo, exec_lo, s8
	s_cbranch_execz .LBB35_7
.LBB35_5:                               ; =>This Inner Loop Header: Depth=1
	s_mov_b32 s2, exec_lo
	v_cmpx_lt_i32_e64 s6, v7
	s_cbranch_execz .LBB35_4
; %bb.6:                                ;   in Loop: Header=BB35_5 Depth=1
	global_load_dwordx2 v[8:9], v[3:4], off offset:-4
	global_load_dwordx2 v[10:11], v[1:2], off offset:-4
	s_waitcnt vmcnt(0)
	v_mul_f32_e32 v12, v9, v11
	v_mul_f32_e32 v9, v9, v10
	v_fmac_f32_e32 v12, v8, v10
	v_fma_f32 v8, v8, v11, -v9
	v_add_f32_e32 v5, v5, v12
	v_add_f32_e32 v6, v6, v8
	s_branch .LBB35_4
.LBB35_7:
	s_inst_prefetch 0x2
	s_or_b32 exec_lo, exec_lo, s8
.LBB35_8:
	s_or_b32 exec_lo, exec_lo, s24
	v_and_b32_e32 v1, 31, v0
	v_cmp_gt_u32_e64 s1, 32, v0
	v_lshlrev_b32_e32 v2, 3, v1
	s_and_saveexec_b32 s2, s1
; %bb.9:
	v_mov_b32_e32 v3, 0
	v_mov_b32_e32 v4, v3
	ds_write_b64 v2, v[3:4]
; %bb.10:
	s_or_b32 exec_lo, exec_lo, s2
	v_mbcnt_lo_u32_b32 v7, -1, 0
	s_mov_b32 s3, exec_lo
	s_waitcnt lgkmcnt(0)
	s_barrier
	buffer_gl0_inv
	v_lshl_or_b32 v3, v7, 2, 64
	v_cmp_gt_u32_e64 s2, 24, v7
	ds_bpermute_b32 v4, v3, v5
	ds_bpermute_b32 v8, v3, v6
	v_cndmask_b32_e64 v3, 0, 8, s2
	v_cmp_gt_u32_e64 s2, 28, v7
	v_add_lshl_u32 v3, v3, v7, 2
	s_waitcnt lgkmcnt(1)
	v_add_f32_e32 v5, v5, v4
	s_waitcnt lgkmcnt(0)
	v_add_f32_e32 v6, v6, v8
	v_cndmask_b32_e64 v4, 0, 4, s2
	v_cmp_gt_u32_e64 s2, 30, v7
	ds_bpermute_b32 v8, v3, v5
	ds_bpermute_b32 v9, v3, v6
	v_add_lshl_u32 v4, v4, v7, 2
	s_waitcnt lgkmcnt(1)
	v_add_f32_e32 v8, v5, v8
	s_waitcnt lgkmcnt(0)
	v_add_f32_e32 v6, v6, v9
	v_cndmask_b32_e64 v5, 0, 2, s2
	v_cmp_ne_u32_e64 s2, 31, v7
	ds_bpermute_b32 v9, v4, v8
	ds_bpermute_b32 v10, v4, v6
	v_add_lshl_u32 v5, v5, v7, 2
	s_waitcnt lgkmcnt(1)
	v_add_f32_e32 v8, v8, v9
	s_waitcnt lgkmcnt(0)
	v_add_f32_e32 v9, v6, v10
	v_add_co_ci_u32_e64 v6, null, 0, v7, s2
	ds_bpermute_b32 v10, v5, v8
	ds_bpermute_b32 v11, v5, v9
	v_lshlrev_b32_e32 v6, 2, v6
	s_waitcnt lgkmcnt(1)
	v_add_f32_e32 v7, v8, v10
	s_waitcnt lgkmcnt(0)
	v_add_f32_e32 v9, v9, v11
	ds_bpermute_b32 v8, v6, v7
	ds_bpermute_b32 v10, v6, v9
	v_cmpx_eq_u32_e32 0, v1
	s_cbranch_execz .LBB35_12
; %bb.11:
	v_lshrrev_b32_e32 v1, 2, v0
	s_waitcnt lgkmcnt(0)
	v_add_f32_e32 v9, v9, v10
	v_add_f32_e32 v8, v7, v8
	v_and_b32_e32 v1, 0x78, v1
	ds_write_b64 v1, v[8:9]
.LBB35_12:
	s_or_b32 exec_lo, exec_lo, s3
	v_cmp_gt_u32_e64 s2, 16, v0
	v_mov_b32_e32 v1, 0
	v_mov_b32_e32 v0, 0
	s_waitcnt lgkmcnt(0)
	s_barrier
	buffer_gl0_inv
	s_and_saveexec_b32 s3, s2
	s_cbranch_execnz .LBB35_16
; %bb.13:
	s_or_b32 exec_lo, exec_lo, s3
	s_and_saveexec_b32 s2, s1
	s_cbranch_execnz .LBB35_17
.LBB35_14:
	s_or_b32 exec_lo, exec_lo, s2
	s_and_saveexec_b32 s1, vcc_lo
	s_cbranch_execnz .LBB35_18
.LBB35_15:
	s_endpgm
.LBB35_16:
	ds_read_b64 v[0:1], v2
	s_or_b32 exec_lo, exec_lo, s3
	s_and_saveexec_b32 s2, s1
	s_cbranch_execz .LBB35_14
.LBB35_17:
	s_waitcnt lgkmcnt(0)
	ds_bpermute_b32 v2, v3, v0
	ds_bpermute_b32 v3, v3, v1
	s_waitcnt lgkmcnt(1)
	v_add_f32_e32 v0, v0, v2
	s_waitcnt lgkmcnt(0)
	v_add_f32_e32 v1, v1, v3
	ds_bpermute_b32 v2, v4, v0
	ds_bpermute_b32 v3, v4, v1
	s_waitcnt lgkmcnt(1)
	v_add_f32_e32 v0, v0, v2
	s_waitcnt lgkmcnt(0)
	v_add_f32_e32 v1, v1, v3
	;; [unrolled: 6-line block ×4, first 2 shown]
	s_or_b32 exec_lo, exec_lo, s2
	s_and_saveexec_b32 s1, vcc_lo
	s_cbranch_execz .LBB35_15
.LBB35_18:
	s_load_dwordx4 s[8:11], s[4:5], 0x48
	v_mov_b32_e32 v2, 0
	s_waitcnt lgkmcnt(0)
	s_mul_i32 s1, s11, s0
	s_mul_hi_u32 s2, s10, s0
	s_mul_i32 s0, s10, s0
	s_add_i32 s1, s2, s1
	s_lshl_b64 s[0:1], s[0:1], 3
	s_add_u32 s2, s8, s0
	s_addc_u32 s3, s9, s1
	s_lshl_b64 s[0:1], s[6:7], 3
	s_add_u32 s0, s2, s0
	s_addc_u32 s1, s3, s1
	global_store_dwordx2 v2, v[0:1], s[0:1]
	s_endpgm
	.section	.rodata,"a",@progbits
	.p2align	6, 0x0
	.amdhsa_kernel _ZL20rocblas_trmvt_kernelILi512ELb1ELb1ELb0EPK19rocblas_complex_numIfEPS1_S4_EviT3_lllT4_lllT5_li
		.amdhsa_group_segment_fixed_size 256
		.amdhsa_private_segment_fixed_size 0
		.amdhsa_kernarg_size 92
		.amdhsa_user_sgpr_count 6
		.amdhsa_user_sgpr_private_segment_buffer 1
		.amdhsa_user_sgpr_dispatch_ptr 0
		.amdhsa_user_sgpr_queue_ptr 0
		.amdhsa_user_sgpr_kernarg_segment_ptr 1
		.amdhsa_user_sgpr_dispatch_id 0
		.amdhsa_user_sgpr_flat_scratch_init 0
		.amdhsa_user_sgpr_private_segment_size 0
		.amdhsa_wavefront_size32 1
		.amdhsa_uses_dynamic_stack 0
		.amdhsa_system_sgpr_private_segment_wavefront_offset 0
		.amdhsa_system_sgpr_workgroup_id_x 1
		.amdhsa_system_sgpr_workgroup_id_y 0
		.amdhsa_system_sgpr_workgroup_id_z 1
		.amdhsa_system_sgpr_workgroup_info 0
		.amdhsa_system_vgpr_workitem_id 0
		.amdhsa_next_free_vgpr 13
		.amdhsa_next_free_sgpr 30
		.amdhsa_reserve_vcc 1
		.amdhsa_reserve_flat_scratch 0
		.amdhsa_float_round_mode_32 0
		.amdhsa_float_round_mode_16_64 0
		.amdhsa_float_denorm_mode_32 3
		.amdhsa_float_denorm_mode_16_64 3
		.amdhsa_dx10_clamp 1
		.amdhsa_ieee_mode 1
		.amdhsa_fp16_overflow 0
		.amdhsa_workgroup_processor_mode 1
		.amdhsa_memory_ordered 1
		.amdhsa_forward_progress 1
		.amdhsa_shared_vgpr_count 0
		.amdhsa_exception_fp_ieee_invalid_op 0
		.amdhsa_exception_fp_denorm_src 0
		.amdhsa_exception_fp_ieee_div_zero 0
		.amdhsa_exception_fp_ieee_overflow 0
		.amdhsa_exception_fp_ieee_underflow 0
		.amdhsa_exception_fp_ieee_inexact 0
		.amdhsa_exception_int_div_zero 0
	.end_amdhsa_kernel
	.section	.text._ZL20rocblas_trmvt_kernelILi512ELb1ELb1ELb0EPK19rocblas_complex_numIfEPS1_S4_EviT3_lllT4_lllT5_li,"axG",@progbits,_ZL20rocblas_trmvt_kernelILi512ELb1ELb1ELb0EPK19rocblas_complex_numIfEPS1_S4_EviT3_lllT4_lllT5_li,comdat
.Lfunc_end35:
	.size	_ZL20rocblas_trmvt_kernelILi512ELb1ELb1ELb0EPK19rocblas_complex_numIfEPS1_S4_EviT3_lllT4_lllT5_li, .Lfunc_end35-_ZL20rocblas_trmvt_kernelILi512ELb1ELb1ELb0EPK19rocblas_complex_numIfEPS1_S4_EviT3_lllT4_lllT5_li
                                        ; -- End function
	.set _ZL20rocblas_trmvt_kernelILi512ELb1ELb1ELb0EPK19rocblas_complex_numIfEPS1_S4_EviT3_lllT4_lllT5_li.num_vgpr, 13
	.set _ZL20rocblas_trmvt_kernelILi512ELb1ELb1ELb0EPK19rocblas_complex_numIfEPS1_S4_EviT3_lllT4_lllT5_li.num_agpr, 0
	.set _ZL20rocblas_trmvt_kernelILi512ELb1ELb1ELb0EPK19rocblas_complex_numIfEPS1_S4_EviT3_lllT4_lllT5_li.numbered_sgpr, 30
	.set _ZL20rocblas_trmvt_kernelILi512ELb1ELb1ELb0EPK19rocblas_complex_numIfEPS1_S4_EviT3_lllT4_lllT5_li.num_named_barrier, 0
	.set _ZL20rocblas_trmvt_kernelILi512ELb1ELb1ELb0EPK19rocblas_complex_numIfEPS1_S4_EviT3_lllT4_lllT5_li.private_seg_size, 0
	.set _ZL20rocblas_trmvt_kernelILi512ELb1ELb1ELb0EPK19rocblas_complex_numIfEPS1_S4_EviT3_lllT4_lllT5_li.uses_vcc, 1
	.set _ZL20rocblas_trmvt_kernelILi512ELb1ELb1ELb0EPK19rocblas_complex_numIfEPS1_S4_EviT3_lllT4_lllT5_li.uses_flat_scratch, 0
	.set _ZL20rocblas_trmvt_kernelILi512ELb1ELb1ELb0EPK19rocblas_complex_numIfEPS1_S4_EviT3_lllT4_lllT5_li.has_dyn_sized_stack, 0
	.set _ZL20rocblas_trmvt_kernelILi512ELb1ELb1ELb0EPK19rocblas_complex_numIfEPS1_S4_EviT3_lllT4_lllT5_li.has_recursion, 0
	.set _ZL20rocblas_trmvt_kernelILi512ELb1ELb1ELb0EPK19rocblas_complex_numIfEPS1_S4_EviT3_lllT4_lllT5_li.has_indirect_call, 0
	.section	.AMDGPU.csdata,"",@progbits
; Kernel info:
; codeLenInByte = 1316
; TotalNumSgprs: 32
; NumVgprs: 13
; ScratchSize: 0
; MemoryBound: 0
; FloatMode: 240
; IeeeMode: 1
; LDSByteSize: 256 bytes/workgroup (compile time only)
; SGPRBlocks: 0
; VGPRBlocks: 1
; NumSGPRsForWavesPerEU: 32
; NumVGPRsForWavesPerEU: 13
; Occupancy: 16
; WaveLimiterHint : 0
; COMPUTE_PGM_RSRC2:SCRATCH_EN: 0
; COMPUTE_PGM_RSRC2:USER_SGPR: 6
; COMPUTE_PGM_RSRC2:TRAP_HANDLER: 0
; COMPUTE_PGM_RSRC2:TGID_X_EN: 1
; COMPUTE_PGM_RSRC2:TGID_Y_EN: 0
; COMPUTE_PGM_RSRC2:TGID_Z_EN: 1
; COMPUTE_PGM_RSRC2:TIDIG_COMP_CNT: 0
	.section	.text._ZL20rocblas_trmvn_kernelILi64ELi16ELb0ELb1EPK19rocblas_complex_numIdEPS1_S4_EviT3_lllT4_lllT5_li,"axG",@progbits,_ZL20rocblas_trmvn_kernelILi64ELi16ELb0ELb1EPK19rocblas_complex_numIdEPS1_S4_EviT3_lllT4_lllT5_li,comdat
	.globl	_ZL20rocblas_trmvn_kernelILi64ELi16ELb0ELb1EPK19rocblas_complex_numIdEPS1_S4_EviT3_lllT4_lllT5_li ; -- Begin function _ZL20rocblas_trmvn_kernelILi64ELi16ELb0ELb1EPK19rocblas_complex_numIdEPS1_S4_EviT3_lllT4_lllT5_li
	.p2align	8
	.type	_ZL20rocblas_trmvn_kernelILi64ELi16ELb0ELb1EPK19rocblas_complex_numIdEPS1_S4_EviT3_lllT4_lllT5_li,@function
_ZL20rocblas_trmvn_kernelILi64ELi16ELb0ELb1EPK19rocblas_complex_numIdEPS1_S4_EviT3_lllT4_lllT5_li: ; @_ZL20rocblas_trmvn_kernelILi64ELi16ELb0ELb1EPK19rocblas_complex_numIdEPS1_S4_EviT3_lllT4_lllT5_li
; %bb.0:
	s_clause 0x1
	s_load_dwordx16 s[8:23], s[4:5], 0x8
	s_load_dword s24, s[4:5], 0x0
	v_lshl_add_u32 v6, s6, 6, v0
	v_mov_b32_e32 v2, 0
	v_mov_b32_e32 v3, 0
	v_cmp_eq_u32_e64 s0, 0, v1
	v_mov_b32_e32 v5, v3
	v_mov_b32_e32 v4, v2
	s_waitcnt lgkmcnt(0)
	s_mul_i32 s1, s23, s7
	v_cmp_gt_i32_e32 vcc_lo, s24, v6
	s_mul_hi_u32 s2, s22, s7
	s_add_i32 s3, s2, s1
	s_mul_i32 s2, s22, s7
	s_and_b32 s0, s0, vcc_lo
	s_and_saveexec_b32 s1, s0
	s_cbranch_execz .LBB36_2
; %bb.1:
	v_ashrrev_i32_e32 v4, 31, v6
	v_mul_lo_u32 v5, s21, v6
	v_mad_u64_u32 v[2:3], null, s20, v6, 0
	s_lshl_b64 s[22:23], s[2:3], 4
	v_mul_lo_u32 v4, s20, v4
	s_add_u32 s0, s16, s22
	s_addc_u32 s6, s17, s23
	s_lshl_b64 s[22:23], s[18:19], 4
	s_add_u32 s0, s0, s22
	s_addc_u32 s6, s6, s23
	v_add3_u32 v3, v3, v4, v5
	v_lshlrev_b64 v[2:3], 4, v[2:3]
	v_add_co_u32 v2, s0, s0, v2
	v_add_co_ci_u32_e64 v3, null, s6, v3, s0
	global_load_dwordx4 v[2:5], v[2:3], off
.LBB36_2:
	s_or_b32 exec_lo, exec_lo, s1
	s_load_dword s6, s[4:5], 0x6c
	s_mov_b32 s22, exec_lo
	v_cmpx_gt_i32_e64 s24, v1
	s_cbranch_execz .LBB36_8
; %bb.3:
	v_mad_u64_u32 v[8:9], null, s12, v1, 0
	v_mad_u64_u32 v[10:11], null, s20, v1, 0
	s_lshl_b64 s[0:1], s[2:3], 4
	s_lshl_b64 s[2:3], s[18:19], 4
	s_mul_i32 s15, s15, s7
	s_add_u32 s2, s16, s2
	s_mul_hi_u32 s18, s14, s7
	s_addc_u32 s3, s17, s3
	v_mad_u64_u32 v[12:13], null, s13, v1, v[9:10]
	s_add_u32 s16, s2, s0
	v_ashrrev_i32_e32 v7, 31, v6
	s_mul_i32 s14, s14, s7
	s_addc_u32 s17, s3, s1
	s_add_i32 s15, s18, s15
	s_lshl_b64 s[0:1], s[10:11], 4
	v_mov_b32_e32 v9, v12
	v_mad_u64_u32 v[11:12], null, s21, v1, v[11:12]
	s_lshl_b64 s[10:11], s[14:15], 4
	s_lshl_b64 s[2:3], s[20:21], 8
	v_lshlrev_b64 v[8:9], 4, v[8:9]
	s_add_u32 s0, s0, s10
	v_lshlrev_b64 v[12:13], 4, v[6:7]
	s_addc_u32 s1, s1, s11
	s_mov_b32 s10, 0
	v_add_co_u32 v14, s0, s0, v8
	v_add_co_ci_u32_e64 v9, null, s1, v9, s0
	v_lshlrev_b64 v[7:8], 4, v[10:11]
	v_add_co_u32 v10, s0, v14, v12
	v_add_co_ci_u32_e64 v9, null, v9, v13, s0
	v_add_co_u32 v7, s0, s16, v7
	v_add_co_ci_u32_e64 v8, null, s17, v8, s0
	;; [unrolled: 2-line block ×5, first 2 shown]
	v_mov_b32_e32 v11, v1
	s_lshl_b64 s[8:9], s[12:13], 8
	s_inst_prefetch 0x1
	s_branch .LBB36_5
	.p2align	6
.LBB36_4:                               ;   in Loop: Header=BB36_5 Depth=1
	s_or_b32 exec_lo, exec_lo, s1
	v_add_nc_u32_e32 v11, 16, v11
	v_add_co_u32 v7, s0, v7, s2
	v_add_co_ci_u32_e64 v8, null, s3, v8, s0
	v_cmp_le_i32_e64 s0, s24, v11
	v_add_co_u32 v9, s1, v9, s8
	v_add_co_ci_u32_e64 v10, null, s9, v10, s1
	s_or_b32 s10, s0, s10
	s_andn2_b32 exec_lo, exec_lo, s10
	s_cbranch_execz .LBB36_7
.LBB36_5:                               ; =>This Inner Loop Header: Depth=1
	s_mov_b32 s1, exec_lo
	v_cmpx_gt_i32_e64 v11, v6
	s_cbranch_execz .LBB36_4
; %bb.6:                                ;   in Loop: Header=BB36_5 Depth=1
	global_load_dwordx4 v[12:15], v[7:8], off offset:-8
	global_load_dwordx4 v[16:19], v[9:10], off offset:-8
	s_waitcnt vmcnt(0)
	v_mul_f64 v[20:21], v[14:15], v[18:19]
	v_mul_f64 v[18:19], v[12:13], v[18:19]
	v_fma_f64 v[12:13], v[12:13], v[16:17], -v[20:21]
	v_fma_f64 v[14:15], v[14:15], v[16:17], v[18:19]
	v_add_f64 v[2:3], v[2:3], v[12:13]
	v_add_f64 v[4:5], v[4:5], v[14:15]
	s_branch .LBB36_4
.LBB36_7:
	s_inst_prefetch 0x2
	s_or_b32 exec_lo, exec_lo, s10
.LBB36_8:
	s_or_b32 exec_lo, exec_lo, s22
	v_lshlrev_b32_e32 v7, 4, v0
	s_waitcnt lgkmcnt(0)
	s_and_b32 s1, 0xffff, s6
	s_mov_b32 s2, exec_lo
	v_mad_u32_u24 v0, v1, s1, v0
	v_lshl_add_u32 v8, v1, 10, v7
	s_waitcnt vmcnt(0)
	ds_write_b128 v8, v[2:5]
	s_waitcnt lgkmcnt(0)
	s_barrier
	buffer_gl0_inv
	v_cmpx_gt_u32_e32 64, v0
	s_cbranch_execz .LBB36_11
; %bb.9:
	v_mul_u32_u24_e32 v0, s1, v1
	v_lshl_add_u32 v0, v0, 4, v7
	ds_read_b128 v[1:4], v0
	ds_read_b128 v[7:10], v0 offset:1024
	s_waitcnt lgkmcnt(0)
	v_add_f64 v[11:12], v[1:2], v[7:8]
	v_add_f64 v[13:14], v[3:4], v[9:10]
	ds_read_b128 v[1:4], v0 offset:2048
	ds_read_b128 v[7:10], v0 offset:3072
	s_waitcnt lgkmcnt(1)
	v_add_f64 v[1:2], v[11:12], v[1:2]
	v_add_f64 v[3:4], v[13:14], v[3:4]
	s_waitcnt lgkmcnt(0)
	v_add_f64 v[11:12], v[1:2], v[7:8]
	v_add_f64 v[13:14], v[3:4], v[9:10]
	ds_read_b128 v[1:4], v0 offset:4096
	ds_read_b128 v[7:10], v0 offset:5120
	s_waitcnt lgkmcnt(1)
	v_add_f64 v[1:2], v[11:12], v[1:2]
	v_add_f64 v[3:4], v[13:14], v[3:4]
	;; [unrolled: 8-line block ×7, first 2 shown]
	s_waitcnt lgkmcnt(0)
	v_add_f64 v[1:2], v[1:2], v[7:8]
	v_add_f64 v[3:4], v[3:4], v[9:10]
	ds_write_b128 v0, v[1:4]
	s_and_b32 exec_lo, exec_lo, vcc_lo
	s_cbranch_execz .LBB36_11
; %bb.10:
	s_load_dwordx4 s[0:3], s[4:5], 0x48
	ds_read2_b64 v[0:3], v0 offset1:1
	v_ashrrev_i32_e32 v7, 31, v6
	v_lshlrev_b64 v[4:5], 4, v[6:7]
	s_waitcnt lgkmcnt(0)
	s_mul_i32 s3, s3, s7
	s_mul_hi_u32 s4, s2, s7
	s_mul_i32 s2, s2, s7
	s_add_i32 s3, s4, s3
	s_lshl_b64 s[2:3], s[2:3], 4
	s_add_u32 s0, s0, s2
	s_addc_u32 s1, s1, s3
	v_add_co_u32 v4, vcc_lo, s0, v4
	v_add_co_ci_u32_e64 v5, null, s1, v5, vcc_lo
	global_store_dwordx4 v[4:5], v[0:3], off
.LBB36_11:
	s_endpgm
	.section	.rodata,"a",@progbits
	.p2align	6, 0x0
	.amdhsa_kernel _ZL20rocblas_trmvn_kernelILi64ELi16ELb0ELb1EPK19rocblas_complex_numIdEPS1_S4_EviT3_lllT4_lllT5_li
		.amdhsa_group_segment_fixed_size 16384
		.amdhsa_private_segment_fixed_size 0
		.amdhsa_kernarg_size 352
		.amdhsa_user_sgpr_count 6
		.amdhsa_user_sgpr_private_segment_buffer 1
		.amdhsa_user_sgpr_dispatch_ptr 0
		.amdhsa_user_sgpr_queue_ptr 0
		.amdhsa_user_sgpr_kernarg_segment_ptr 1
		.amdhsa_user_sgpr_dispatch_id 0
		.amdhsa_user_sgpr_flat_scratch_init 0
		.amdhsa_user_sgpr_private_segment_size 0
		.amdhsa_wavefront_size32 1
		.amdhsa_uses_dynamic_stack 0
		.amdhsa_system_sgpr_private_segment_wavefront_offset 0
		.amdhsa_system_sgpr_workgroup_id_x 1
		.amdhsa_system_sgpr_workgroup_id_y 0
		.amdhsa_system_sgpr_workgroup_id_z 1
		.amdhsa_system_sgpr_workgroup_info 0
		.amdhsa_system_vgpr_workitem_id 1
		.amdhsa_next_free_vgpr 22
		.amdhsa_next_free_sgpr 25
		.amdhsa_reserve_vcc 1
		.amdhsa_reserve_flat_scratch 0
		.amdhsa_float_round_mode_32 0
		.amdhsa_float_round_mode_16_64 0
		.amdhsa_float_denorm_mode_32 3
		.amdhsa_float_denorm_mode_16_64 3
		.amdhsa_dx10_clamp 1
		.amdhsa_ieee_mode 1
		.amdhsa_fp16_overflow 0
		.amdhsa_workgroup_processor_mode 1
		.amdhsa_memory_ordered 1
		.amdhsa_forward_progress 1
		.amdhsa_shared_vgpr_count 0
		.amdhsa_exception_fp_ieee_invalid_op 0
		.amdhsa_exception_fp_denorm_src 0
		.amdhsa_exception_fp_ieee_div_zero 0
		.amdhsa_exception_fp_ieee_overflow 0
		.amdhsa_exception_fp_ieee_underflow 0
		.amdhsa_exception_fp_ieee_inexact 0
		.amdhsa_exception_int_div_zero 0
	.end_amdhsa_kernel
	.section	.text._ZL20rocblas_trmvn_kernelILi64ELi16ELb0ELb1EPK19rocblas_complex_numIdEPS1_S4_EviT3_lllT4_lllT5_li,"axG",@progbits,_ZL20rocblas_trmvn_kernelILi64ELi16ELb0ELb1EPK19rocblas_complex_numIdEPS1_S4_EviT3_lllT4_lllT5_li,comdat
.Lfunc_end36:
	.size	_ZL20rocblas_trmvn_kernelILi64ELi16ELb0ELb1EPK19rocblas_complex_numIdEPS1_S4_EviT3_lllT4_lllT5_li, .Lfunc_end36-_ZL20rocblas_trmvn_kernelILi64ELi16ELb0ELb1EPK19rocblas_complex_numIdEPS1_S4_EviT3_lllT4_lllT5_li
                                        ; -- End function
	.set _ZL20rocblas_trmvn_kernelILi64ELi16ELb0ELb1EPK19rocblas_complex_numIdEPS1_S4_EviT3_lllT4_lllT5_li.num_vgpr, 22
	.set _ZL20rocblas_trmvn_kernelILi64ELi16ELb0ELb1EPK19rocblas_complex_numIdEPS1_S4_EviT3_lllT4_lllT5_li.num_agpr, 0
	.set _ZL20rocblas_trmvn_kernelILi64ELi16ELb0ELb1EPK19rocblas_complex_numIdEPS1_S4_EviT3_lllT4_lllT5_li.numbered_sgpr, 25
	.set _ZL20rocblas_trmvn_kernelILi64ELi16ELb0ELb1EPK19rocblas_complex_numIdEPS1_S4_EviT3_lllT4_lllT5_li.num_named_barrier, 0
	.set _ZL20rocblas_trmvn_kernelILi64ELi16ELb0ELb1EPK19rocblas_complex_numIdEPS1_S4_EviT3_lllT4_lllT5_li.private_seg_size, 0
	.set _ZL20rocblas_trmvn_kernelILi64ELi16ELb0ELb1EPK19rocblas_complex_numIdEPS1_S4_EviT3_lllT4_lllT5_li.uses_vcc, 1
	.set _ZL20rocblas_trmvn_kernelILi64ELi16ELb0ELb1EPK19rocblas_complex_numIdEPS1_S4_EviT3_lllT4_lllT5_li.uses_flat_scratch, 0
	.set _ZL20rocblas_trmvn_kernelILi64ELi16ELb0ELb1EPK19rocblas_complex_numIdEPS1_S4_EviT3_lllT4_lllT5_li.has_dyn_sized_stack, 0
	.set _ZL20rocblas_trmvn_kernelILi64ELi16ELb0ELb1EPK19rocblas_complex_numIdEPS1_S4_EviT3_lllT4_lllT5_li.has_recursion, 0
	.set _ZL20rocblas_trmvn_kernelILi64ELi16ELb0ELb1EPK19rocblas_complex_numIdEPS1_S4_EviT3_lllT4_lllT5_li.has_indirect_call, 0
	.section	.AMDGPU.csdata,"",@progbits
; Kernel info:
; codeLenInByte = 1224
; TotalNumSgprs: 27
; NumVgprs: 22
; ScratchSize: 0
; MemoryBound: 0
; FloatMode: 240
; IeeeMode: 1
; LDSByteSize: 16384 bytes/workgroup (compile time only)
; SGPRBlocks: 0
; VGPRBlocks: 2
; NumSGPRsForWavesPerEU: 27
; NumVGPRsForWavesPerEU: 22
; Occupancy: 16
; WaveLimiterHint : 0
; COMPUTE_PGM_RSRC2:SCRATCH_EN: 0
; COMPUTE_PGM_RSRC2:USER_SGPR: 6
; COMPUTE_PGM_RSRC2:TRAP_HANDLER: 0
; COMPUTE_PGM_RSRC2:TGID_X_EN: 1
; COMPUTE_PGM_RSRC2:TGID_Y_EN: 0
; COMPUTE_PGM_RSRC2:TGID_Z_EN: 1
; COMPUTE_PGM_RSRC2:TIDIG_COMP_CNT: 1
	.section	.text._ZL20rocblas_trmvt_kernelILi512ELb0ELb0ELb1EPK19rocblas_complex_numIdEPS1_S4_EviT3_lllT4_lllT5_li,"axG",@progbits,_ZL20rocblas_trmvt_kernelILi512ELb0ELb0ELb1EPK19rocblas_complex_numIdEPS1_S4_EviT3_lllT4_lllT5_li,comdat
	.globl	_ZL20rocblas_trmvt_kernelILi512ELb0ELb0ELb1EPK19rocblas_complex_numIdEPS1_S4_EviT3_lllT4_lllT5_li ; -- Begin function _ZL20rocblas_trmvt_kernelILi512ELb0ELb0ELb1EPK19rocblas_complex_numIdEPS1_S4_EviT3_lllT4_lllT5_li
	.p2align	8
	.type	_ZL20rocblas_trmvt_kernelILi512ELb0ELb0ELb1EPK19rocblas_complex_numIdEPS1_S4_EviT3_lllT4_lllT5_li,@function
_ZL20rocblas_trmvt_kernelILi512ELb0ELb0ELb1EPK19rocblas_complex_numIdEPS1_S4_EviT3_lllT4_lllT5_li: ; @_ZL20rocblas_trmvt_kernelILi512ELb0ELb0ELb1EPK19rocblas_complex_numIdEPS1_S4_EviT3_lllT4_lllT5_li
; %bb.0:
	s_load_dwordx16 s[8:23], s[4:5], 0x8
	v_mov_b32_e32 v3, 0
	v_mov_b32_e32 v1, 0
	v_mov_b32_e32 v4, 0
	v_mov_b32_e32 v2, 0
	v_cmp_eq_u32_e32 vcc_lo, 0, v0
	s_mov_b32 s0, s7
	s_waitcnt lgkmcnt(0)
	s_mul_i32 s1, s23, s7
	s_mul_hi_u32 s3, s22, s7
	s_mul_i32 s2, s22, s7
	s_add_i32 s3, s3, s1
	s_ashr_i32 s7, s6, 31
	s_and_saveexec_b32 s1, vcc_lo
	s_cbranch_execz .LBB37_2
; %bb.1:
	s_lshl_b64 s[22:23], s[2:3], 4
	s_mul_i32 s26, s20, s7
	s_add_u32 s24, s16, s22
	s_addc_u32 s25, s17, s23
	s_lshl_b64 s[22:23], s[18:19], 4
	s_add_u32 s24, s24, s22
	s_mul_hi_u32 s22, s20, s6
	s_addc_u32 s25, s25, s23
	s_add_i32 s22, s22, s26
	s_mul_i32 s23, s21, s6
	s_add_i32 s23, s22, s23
	s_mul_i32 s22, s20, s6
	s_lshl_b64 s[22:23], s[22:23], 4
	s_add_u32 s22, s24, s22
	s_addc_u32 s23, s25, s23
	s_load_dwordx4 s[24:27], s[22:23], 0x0
	s_waitcnt lgkmcnt(0)
	v_add_f64 v[3:4], s[24:25], 0
	v_add_f64 v[1:2], s[26:27], 0
.LBB37_2:
	s_or_b32 exec_lo, exec_lo, s1
	s_load_dword s23, s[4:5], 0x0
	s_waitcnt lgkmcnt(0)
	v_cmp_gt_i32_e64 s1, s23, v0
	s_and_saveexec_b32 s22, s1
	s_cbranch_execz .LBB37_8
; %bb.3:
	v_mad_u64_u32 v[5:6], null, s20, v0, 0
	s_lshl_b64 s[18:19], s[18:19], 4
	s_lshl_b64 s[2:3], s[2:3], 4
	s_add_u32 s16, s16, s18
	v_cndmask_b32_e64 v8, 0, v0, s1
	s_mul_i32 s1, s12, s7
	s_mul_hi_u32 s24, s12, s6
	v_mad_u64_u32 v[6:7], null, s21, v0, v[6:7]
	s_addc_u32 s17, s17, s19
	s_add_u32 s16, s16, s2
	s_mul_i32 s13, s13, s6
	s_mul_i32 s15, s15, s0
	s_mul_hi_u32 s25, s14, s0
	s_addc_u32 s17, s17, s3
	s_add_i32 s1, s24, s1
	v_lshlrev_b64 v[5:6], 4, v[5:6]
	s_mul_i32 s12, s12, s6
	s_mul_i32 s14, s14, s0
	s_add_i32 s15, s25, s15
	s_add_i32 s13, s1, s13
	s_lshl_b64 s[2:3], s[14:15], 4
	s_lshl_b64 s[14:15], s[12:13], 4
	;; [unrolled: 1-line block ×3, first 2 shown]
	s_add_u32 s14, s14, s2
	s_addc_u32 s15, s15, s3
	s_lshl_b64 s[2:3], s[10:11], 4
	v_add_co_u32 v5, s1, s16, v5
	v_lshlrev_b32_e32 v7, 4, v8
	v_add_co_ci_u32_e64 v6, null, s17, v6, s1
	s_add_u32 s1, s14, s2
	s_addc_u32 s2, s15, s3
	s_add_u32 s1, s8, s1
	s_addc_u32 s2, s9, s2
	v_add_co_u32 v7, s1, s1, v7
	v_add_co_ci_u32_e64 v8, null, s2, 0, s1
	v_add_co_u32 v5, s1, v5, 8
	v_add_co_ci_u32_e64 v6, null, 0, v6, s1
	;; [unrolled: 2-line block ×3, first 2 shown]
	v_mov_b32_e32 v9, v0
	s_mov_b32 s3, 0
	s_inst_prefetch 0x1
	s_branch .LBB37_5
	.p2align	6
.LBB37_4:                               ;   in Loop: Header=BB37_5 Depth=1
	s_or_b32 exec_lo, exec_lo, s2
	v_add_nc_u32_e32 v9, 0x200, v9
	v_add_co_u32 v5, s1, v5, s12
	v_add_co_ci_u32_e64 v6, null, s13, v6, s1
	v_cmp_le_i32_e64 s1, s23, v9
	v_add_co_u32 v7, s2, 0x2000, v7
	v_add_co_ci_u32_e64 v8, null, 0, v8, s2
	s_or_b32 s3, s1, s3
	s_andn2_b32 exec_lo, exec_lo, s3
	s_cbranch_execz .LBB37_7
.LBB37_5:                               ; =>This Inner Loop Header: Depth=1
	s_mov_b32 s2, exec_lo
	v_cmpx_gt_i32_e64 s6, v9
	s_cbranch_execz .LBB37_4
; %bb.6:                                ;   in Loop: Header=BB37_5 Depth=1
	global_load_dwordx4 v[10:13], v[7:8], off offset:-8
	global_load_dwordx4 v[14:17], v[5:6], off offset:-8
	s_waitcnt vmcnt(0)
	v_mul_f64 v[18:19], v[12:13], v[16:17]
	v_mul_f64 v[16:17], v[10:11], v[16:17]
	v_fma_f64 v[10:11], v[10:11], v[14:15], -v[18:19]
	v_fma_f64 v[12:13], v[12:13], v[14:15], v[16:17]
	v_add_f64 v[3:4], v[3:4], v[10:11]
	v_add_f64 v[1:2], v[1:2], v[12:13]
	s_branch .LBB37_4
.LBB37_7:
	s_inst_prefetch 0x2
	s_or_b32 exec_lo, exec_lo, s3
.LBB37_8:
	s_or_b32 exec_lo, exec_lo, s22
	v_and_b32_e32 v14, 31, v0
	v_cmp_gt_u32_e64 s1, 32, v0
	v_lshlrev_b32_e32 v9, 4, v14
	s_and_saveexec_b32 s2, s1
	s_cbranch_execz .LBB37_10
; %bb.9:
	v_mov_b32_e32 v5, 0
	v_mov_b32_e32 v6, v5
	;; [unrolled: 1-line block ×4, first 2 shown]
	ds_write_b128 v9, v[5:8]
.LBB37_10:
	s_or_b32 exec_lo, exec_lo, s2
	v_mbcnt_lo_u32_b32 v13, -1, 0
	s_mov_b32 s3, exec_lo
	s_waitcnt lgkmcnt(0)
	s_barrier
	buffer_gl0_inv
	v_lshl_or_b32 v8, v13, 2, 64
	v_cmp_gt_u32_e64 s2, 24, v13
	ds_bpermute_b32 v5, v8, v3
	ds_bpermute_b32 v6, v8, v4
	;; [unrolled: 1-line block ×4, first 2 shown]
	s_waitcnt lgkmcnt(2)
	v_add_f64 v[3:4], v[3:4], v[5:6]
	v_cndmask_b32_e64 v5, 0, 8, s2
	s_waitcnt lgkmcnt(0)
	v_add_f64 v[1:2], v[1:2], v[7:8]
	v_cmp_gt_u32_e64 s2, 28, v13
	v_add_lshl_u32 v10, v5, v13, 2
	ds_bpermute_b32 v5, v10, v3
	ds_bpermute_b32 v6, v10, v4
	;; [unrolled: 1-line block ×4, first 2 shown]
	s_waitcnt lgkmcnt(2)
	v_add_f64 v[3:4], v[3:4], v[5:6]
	v_cndmask_b32_e64 v5, 0, 4, s2
	s_waitcnt lgkmcnt(0)
	v_add_f64 v[1:2], v[1:2], v[7:8]
	v_cmp_gt_u32_e64 s2, 30, v13
	v_add_lshl_u32 v11, v5, v13, 2
	ds_bpermute_b32 v5, v11, v3
	ds_bpermute_b32 v6, v11, v4
	;; [unrolled: 1-line block ×4, first 2 shown]
	s_waitcnt lgkmcnt(2)
	v_add_f64 v[3:4], v[3:4], v[5:6]
	s_waitcnt lgkmcnt(0)
	v_add_f64 v[5:6], v[1:2], v[7:8]
	v_cndmask_b32_e64 v1, 0, 2, s2
	v_cmp_ne_u32_e64 s2, 31, v13
	v_add_lshl_u32 v12, v1, v13, 2
	ds_bpermute_b32 v1, v12, v3
	ds_bpermute_b32 v2, v12, v4
	;; [unrolled: 1-line block ×4, first 2 shown]
	s_waitcnt lgkmcnt(2)
	v_add_f64 v[1:2], v[3:4], v[1:2]
	s_waitcnt lgkmcnt(0)
	v_add_f64 v[3:4], v[5:6], v[7:8]
	v_add_co_ci_u32_e64 v5, null, 0, v13, s2
	v_lshlrev_b32_e32 v13, 2, v5
	ds_bpermute_b32 v5, v13, v1
	ds_bpermute_b32 v6, v13, v2
	;; [unrolled: 1-line block ×4, first 2 shown]
	v_cmpx_eq_u32_e32 0, v14
	s_cbranch_execz .LBB37_12
; %bb.11:
	s_waitcnt lgkmcnt(0)
	v_add_f64 v[3:4], v[3:4], v[7:8]
	v_add_f64 v[1:2], v[1:2], v[5:6]
	v_lshrrev_b32_e32 v5, 1, v0
	v_and_b32_e32 v5, 0xf0, v5
	ds_write_b128 v5, v[1:4]
.LBB37_12:
	s_or_b32 exec_lo, exec_lo, s3
	v_mov_b32_e32 v3, 0
	v_mov_b32_e32 v1, 0
	v_mov_b32_e32 v4, 0
	v_mov_b32_e32 v2, 0
	s_mov_b32 s3, exec_lo
	s_waitcnt lgkmcnt(0)
	s_barrier
	buffer_gl0_inv
	v_cmpx_gt_u32_e32 16, v0
	s_cbranch_execnz .LBB37_16
; %bb.13:
	s_or_b32 exec_lo, exec_lo, s3
	s_and_saveexec_b32 s2, s1
	s_cbranch_execnz .LBB37_17
.LBB37_14:
	s_or_b32 exec_lo, exec_lo, s2
	s_and_saveexec_b32 s1, vcc_lo
	s_cbranch_execnz .LBB37_18
.LBB37_15:
	s_endpgm
.LBB37_16:
	ds_read_b128 v[1:4], v9
	s_or_b32 exec_lo, exec_lo, s3
	s_and_saveexec_b32 s2, s1
	s_cbranch_execz .LBB37_14
.LBB37_17:
	s_waitcnt lgkmcnt(0)
	ds_bpermute_b32 v5, v10, v1
	ds_bpermute_b32 v6, v10, v2
	ds_bpermute_b32 v7, v10, v3
	ds_bpermute_b32 v8, v10, v4
	s_waitcnt lgkmcnt(2)
	v_add_f64 v[0:1], v[1:2], v[5:6]
	s_waitcnt lgkmcnt(0)
	v_add_f64 v[2:3], v[3:4], v[7:8]
	ds_bpermute_b32 v4, v11, v0
	ds_bpermute_b32 v5, v11, v1
	ds_bpermute_b32 v6, v11, v2
	ds_bpermute_b32 v7, v11, v3
	s_waitcnt lgkmcnt(2)
	v_add_f64 v[0:1], v[0:1], v[4:5]
	s_waitcnt lgkmcnt(0)
	v_add_f64 v[2:3], v[2:3], v[6:7]
	;; [unrolled: 8-line block ×4, first 2 shown]
	s_or_b32 exec_lo, exec_lo, s2
	s_and_saveexec_b32 s1, vcc_lo
	s_cbranch_execz .LBB37_15
.LBB37_18:
	s_load_dwordx4 s[8:11], s[4:5], 0x48
	v_mov_b32_e32 v0, 0
	s_waitcnt lgkmcnt(0)
	s_mul_i32 s1, s11, s0
	s_mul_hi_u32 s2, s10, s0
	s_mul_i32 s0, s10, s0
	s_add_i32 s1, s2, s1
	s_lshl_b64 s[0:1], s[0:1], 4
	s_add_u32 s2, s8, s0
	s_addc_u32 s3, s9, s1
	s_lshl_b64 s[0:1], s[6:7], 4
	s_add_u32 s0, s2, s0
	s_addc_u32 s1, s3, s1
	global_store_dwordx4 v0, v[1:4], s[0:1]
	s_endpgm
	.section	.rodata,"a",@progbits
	.p2align	6, 0x0
	.amdhsa_kernel _ZL20rocblas_trmvt_kernelILi512ELb0ELb0ELb1EPK19rocblas_complex_numIdEPS1_S4_EviT3_lllT4_lllT5_li
		.amdhsa_group_segment_fixed_size 512
		.amdhsa_private_segment_fixed_size 0
		.amdhsa_kernarg_size 92
		.amdhsa_user_sgpr_count 6
		.amdhsa_user_sgpr_private_segment_buffer 1
		.amdhsa_user_sgpr_dispatch_ptr 0
		.amdhsa_user_sgpr_queue_ptr 0
		.amdhsa_user_sgpr_kernarg_segment_ptr 1
		.amdhsa_user_sgpr_dispatch_id 0
		.amdhsa_user_sgpr_flat_scratch_init 0
		.amdhsa_user_sgpr_private_segment_size 0
		.amdhsa_wavefront_size32 1
		.amdhsa_uses_dynamic_stack 0
		.amdhsa_system_sgpr_private_segment_wavefront_offset 0
		.amdhsa_system_sgpr_workgroup_id_x 1
		.amdhsa_system_sgpr_workgroup_id_y 0
		.amdhsa_system_sgpr_workgroup_id_z 1
		.amdhsa_system_sgpr_workgroup_info 0
		.amdhsa_system_vgpr_workitem_id 0
		.amdhsa_next_free_vgpr 20
		.amdhsa_next_free_sgpr 28
		.amdhsa_reserve_vcc 1
		.amdhsa_reserve_flat_scratch 0
		.amdhsa_float_round_mode_32 0
		.amdhsa_float_round_mode_16_64 0
		.amdhsa_float_denorm_mode_32 3
		.amdhsa_float_denorm_mode_16_64 3
		.amdhsa_dx10_clamp 1
		.amdhsa_ieee_mode 1
		.amdhsa_fp16_overflow 0
		.amdhsa_workgroup_processor_mode 1
		.amdhsa_memory_ordered 1
		.amdhsa_forward_progress 1
		.amdhsa_shared_vgpr_count 0
		.amdhsa_exception_fp_ieee_invalid_op 0
		.amdhsa_exception_fp_denorm_src 0
		.amdhsa_exception_fp_ieee_div_zero 0
		.amdhsa_exception_fp_ieee_overflow 0
		.amdhsa_exception_fp_ieee_underflow 0
		.amdhsa_exception_fp_ieee_inexact 0
		.amdhsa_exception_int_div_zero 0
	.end_amdhsa_kernel
	.section	.text._ZL20rocblas_trmvt_kernelILi512ELb0ELb0ELb1EPK19rocblas_complex_numIdEPS1_S4_EviT3_lllT4_lllT5_li,"axG",@progbits,_ZL20rocblas_trmvt_kernelILi512ELb0ELb0ELb1EPK19rocblas_complex_numIdEPS1_S4_EviT3_lllT4_lllT5_li,comdat
.Lfunc_end37:
	.size	_ZL20rocblas_trmvt_kernelILi512ELb0ELb0ELb1EPK19rocblas_complex_numIdEPS1_S4_EviT3_lllT4_lllT5_li, .Lfunc_end37-_ZL20rocblas_trmvt_kernelILi512ELb0ELb0ELb1EPK19rocblas_complex_numIdEPS1_S4_EviT3_lllT4_lllT5_li
                                        ; -- End function
	.set _ZL20rocblas_trmvt_kernelILi512ELb0ELb0ELb1EPK19rocblas_complex_numIdEPS1_S4_EviT3_lllT4_lllT5_li.num_vgpr, 20
	.set _ZL20rocblas_trmvt_kernelILi512ELb0ELb0ELb1EPK19rocblas_complex_numIdEPS1_S4_EviT3_lllT4_lllT5_li.num_agpr, 0
	.set _ZL20rocblas_trmvt_kernelILi512ELb0ELb0ELb1EPK19rocblas_complex_numIdEPS1_S4_EviT3_lllT4_lllT5_li.numbered_sgpr, 28
	.set _ZL20rocblas_trmvt_kernelILi512ELb0ELb0ELb1EPK19rocblas_complex_numIdEPS1_S4_EviT3_lllT4_lllT5_li.num_named_barrier, 0
	.set _ZL20rocblas_trmvt_kernelILi512ELb0ELb0ELb1EPK19rocblas_complex_numIdEPS1_S4_EviT3_lllT4_lllT5_li.private_seg_size, 0
	.set _ZL20rocblas_trmvt_kernelILi512ELb0ELb0ELb1EPK19rocblas_complex_numIdEPS1_S4_EviT3_lllT4_lllT5_li.uses_vcc, 1
	.set _ZL20rocblas_trmvt_kernelILi512ELb0ELb0ELb1EPK19rocblas_complex_numIdEPS1_S4_EviT3_lllT4_lllT5_li.uses_flat_scratch, 0
	.set _ZL20rocblas_trmvt_kernelILi512ELb0ELb0ELb1EPK19rocblas_complex_numIdEPS1_S4_EviT3_lllT4_lllT5_li.has_dyn_sized_stack, 0
	.set _ZL20rocblas_trmvt_kernelILi512ELb0ELb0ELb1EPK19rocblas_complex_numIdEPS1_S4_EviT3_lllT4_lllT5_li.has_recursion, 0
	.set _ZL20rocblas_trmvt_kernelILi512ELb0ELb0ELb1EPK19rocblas_complex_numIdEPS1_S4_EviT3_lllT4_lllT5_li.has_indirect_call, 0
	.section	.AMDGPU.csdata,"",@progbits
; Kernel info:
; codeLenInByte = 1504
; TotalNumSgprs: 30
; NumVgprs: 20
; ScratchSize: 0
; MemoryBound: 0
; FloatMode: 240
; IeeeMode: 1
; LDSByteSize: 512 bytes/workgroup (compile time only)
; SGPRBlocks: 0
; VGPRBlocks: 2
; NumSGPRsForWavesPerEU: 30
; NumVGPRsForWavesPerEU: 20
; Occupancy: 16
; WaveLimiterHint : 0
; COMPUTE_PGM_RSRC2:SCRATCH_EN: 0
; COMPUTE_PGM_RSRC2:USER_SGPR: 6
; COMPUTE_PGM_RSRC2:TRAP_HANDLER: 0
; COMPUTE_PGM_RSRC2:TGID_X_EN: 1
; COMPUTE_PGM_RSRC2:TGID_Y_EN: 0
; COMPUTE_PGM_RSRC2:TGID_Z_EN: 1
; COMPUTE_PGM_RSRC2:TIDIG_COMP_CNT: 0
	.section	.text._ZL20rocblas_trmvt_kernelILi512ELb0ELb1ELb1EPK19rocblas_complex_numIdEPS1_S4_EviT3_lllT4_lllT5_li,"axG",@progbits,_ZL20rocblas_trmvt_kernelILi512ELb0ELb1ELb1EPK19rocblas_complex_numIdEPS1_S4_EviT3_lllT4_lllT5_li,comdat
	.globl	_ZL20rocblas_trmvt_kernelILi512ELb0ELb1ELb1EPK19rocblas_complex_numIdEPS1_S4_EviT3_lllT4_lllT5_li ; -- Begin function _ZL20rocblas_trmvt_kernelILi512ELb0ELb1ELb1EPK19rocblas_complex_numIdEPS1_S4_EviT3_lllT4_lllT5_li
	.p2align	8
	.type	_ZL20rocblas_trmvt_kernelILi512ELb0ELb1ELb1EPK19rocblas_complex_numIdEPS1_S4_EviT3_lllT4_lllT5_li,@function
_ZL20rocblas_trmvt_kernelILi512ELb0ELb1ELb1EPK19rocblas_complex_numIdEPS1_S4_EviT3_lllT4_lllT5_li: ; @_ZL20rocblas_trmvt_kernelILi512ELb0ELb1ELb1EPK19rocblas_complex_numIdEPS1_S4_EviT3_lllT4_lllT5_li
; %bb.0:
	s_load_dwordx16 s[8:23], s[4:5], 0x8
	v_mov_b32_e32 v3, 0
	v_mov_b32_e32 v1, 0
	;; [unrolled: 1-line block ×4, first 2 shown]
	v_cmp_eq_u32_e32 vcc_lo, 0, v0
	s_mov_b32 s0, s7
	s_waitcnt lgkmcnt(0)
	s_mul_i32 s1, s23, s7
	s_mul_hi_u32 s3, s22, s7
	s_mul_i32 s2, s22, s7
	s_add_i32 s3, s3, s1
	s_ashr_i32 s7, s6, 31
	s_and_saveexec_b32 s1, vcc_lo
	s_cbranch_execz .LBB38_2
; %bb.1:
	s_lshl_b64 s[22:23], s[2:3], 4
	s_mul_i32 s26, s20, s7
	s_add_u32 s24, s16, s22
	s_addc_u32 s25, s17, s23
	s_lshl_b64 s[22:23], s[18:19], 4
	s_add_u32 s24, s24, s22
	s_mul_hi_u32 s22, s20, s6
	s_addc_u32 s25, s25, s23
	s_add_i32 s22, s22, s26
	s_mul_i32 s23, s21, s6
	s_add_i32 s23, s22, s23
	s_mul_i32 s22, s20, s6
	s_lshl_b64 s[22:23], s[22:23], 4
	s_add_u32 s22, s24, s22
	s_addc_u32 s23, s25, s23
	s_load_dwordx4 s[24:27], s[22:23], 0x0
	s_waitcnt lgkmcnt(0)
	v_add_f64 v[3:4], s[24:25], 0
	v_add_f64 v[1:2], s[26:27], 0
.LBB38_2:
	s_or_b32 exec_lo, exec_lo, s1
	s_load_dword s23, s[4:5], 0x0
	s_waitcnt lgkmcnt(0)
	v_cmp_gt_i32_e64 s1, s23, v0
	s_and_saveexec_b32 s22, s1
	s_cbranch_execz .LBB38_8
; %bb.3:
	v_mad_u64_u32 v[5:6], null, s20, v0, 0
	s_lshl_b64 s[18:19], s[18:19], 4
	s_lshl_b64 s[2:3], s[2:3], 4
	s_add_u32 s16, s16, s18
	v_cndmask_b32_e64 v8, 0, v0, s1
	s_mul_i32 s1, s12, s7
	s_mul_hi_u32 s24, s12, s6
	v_mad_u64_u32 v[6:7], null, s21, v0, v[6:7]
	s_addc_u32 s17, s17, s19
	s_add_u32 s16, s16, s2
	s_mul_i32 s13, s13, s6
	s_mul_i32 s15, s15, s0
	s_mul_hi_u32 s25, s14, s0
	s_addc_u32 s17, s17, s3
	s_add_i32 s1, s24, s1
	v_lshlrev_b64 v[5:6], 4, v[5:6]
	s_mul_i32 s12, s12, s6
	s_mul_i32 s14, s14, s0
	s_add_i32 s15, s25, s15
	s_add_i32 s13, s1, s13
	s_lshl_b64 s[2:3], s[14:15], 4
	s_lshl_b64 s[14:15], s[12:13], 4
	;; [unrolled: 1-line block ×3, first 2 shown]
	s_add_u32 s14, s14, s2
	s_addc_u32 s15, s15, s3
	s_lshl_b64 s[2:3], s[10:11], 4
	v_add_co_u32 v5, s1, s16, v5
	v_lshlrev_b32_e32 v7, 4, v8
	v_add_co_ci_u32_e64 v6, null, s17, v6, s1
	s_add_u32 s1, s14, s2
	s_addc_u32 s2, s15, s3
	s_add_u32 s1, s8, s1
	s_addc_u32 s2, s9, s2
	v_add_co_u32 v7, s1, s1, v7
	v_add_co_ci_u32_e64 v8, null, s2, 0, s1
	v_add_co_u32 v5, s1, v5, 8
	v_add_co_ci_u32_e64 v6, null, 0, v6, s1
	;; [unrolled: 2-line block ×3, first 2 shown]
	v_mov_b32_e32 v9, v0
	s_mov_b32 s3, 0
	s_inst_prefetch 0x1
	s_branch .LBB38_5
	.p2align	6
.LBB38_4:                               ;   in Loop: Header=BB38_5 Depth=1
	s_or_b32 exec_lo, exec_lo, s2
	v_add_nc_u32_e32 v9, 0x200, v9
	v_add_co_u32 v5, s1, v5, s12
	v_add_co_ci_u32_e64 v6, null, s13, v6, s1
	v_cmp_le_i32_e64 s1, s23, v9
	v_add_co_u32 v7, s2, 0x2000, v7
	v_add_co_ci_u32_e64 v8, null, 0, v8, s2
	s_or_b32 s3, s1, s3
	s_andn2_b32 exec_lo, exec_lo, s3
	s_cbranch_execz .LBB38_7
.LBB38_5:                               ; =>This Inner Loop Header: Depth=1
	s_mov_b32 s2, exec_lo
	v_cmpx_gt_i32_e64 s6, v9
	s_cbranch_execz .LBB38_4
; %bb.6:                                ;   in Loop: Header=BB38_5 Depth=1
	global_load_dwordx4 v[10:13], v[7:8], off offset:-8
	global_load_dwordx4 v[14:17], v[5:6], off offset:-8
	s_waitcnt vmcnt(0)
	v_mul_f64 v[18:19], v[12:13], v[16:17]
	v_mul_f64 v[12:13], v[12:13], v[14:15]
	v_fma_f64 v[14:15], v[10:11], v[14:15], v[18:19]
	v_fma_f64 v[10:11], v[10:11], v[16:17], -v[12:13]
	v_add_f64 v[3:4], v[3:4], v[14:15]
	v_add_f64 v[1:2], v[1:2], v[10:11]
	s_branch .LBB38_4
.LBB38_7:
	s_inst_prefetch 0x2
	s_or_b32 exec_lo, exec_lo, s3
.LBB38_8:
	s_or_b32 exec_lo, exec_lo, s22
	v_and_b32_e32 v14, 31, v0
	v_cmp_gt_u32_e64 s1, 32, v0
	v_lshlrev_b32_e32 v9, 4, v14
	s_and_saveexec_b32 s2, s1
	s_cbranch_execz .LBB38_10
; %bb.9:
	v_mov_b32_e32 v5, 0
	v_mov_b32_e32 v6, v5
	;; [unrolled: 1-line block ×4, first 2 shown]
	ds_write_b128 v9, v[5:8]
.LBB38_10:
	s_or_b32 exec_lo, exec_lo, s2
	v_mbcnt_lo_u32_b32 v13, -1, 0
	s_mov_b32 s3, exec_lo
	s_waitcnt lgkmcnt(0)
	s_barrier
	buffer_gl0_inv
	v_lshl_or_b32 v8, v13, 2, 64
	v_cmp_gt_u32_e64 s2, 24, v13
	ds_bpermute_b32 v5, v8, v3
	ds_bpermute_b32 v6, v8, v4
	ds_bpermute_b32 v7, v8, v1
	ds_bpermute_b32 v8, v8, v2
	s_waitcnt lgkmcnt(2)
	v_add_f64 v[3:4], v[3:4], v[5:6]
	v_cndmask_b32_e64 v5, 0, 8, s2
	s_waitcnt lgkmcnt(0)
	v_add_f64 v[1:2], v[1:2], v[7:8]
	v_cmp_gt_u32_e64 s2, 28, v13
	v_add_lshl_u32 v10, v5, v13, 2
	ds_bpermute_b32 v5, v10, v3
	ds_bpermute_b32 v6, v10, v4
	;; [unrolled: 1-line block ×4, first 2 shown]
	s_waitcnt lgkmcnt(2)
	v_add_f64 v[3:4], v[3:4], v[5:6]
	v_cndmask_b32_e64 v5, 0, 4, s2
	s_waitcnt lgkmcnt(0)
	v_add_f64 v[1:2], v[1:2], v[7:8]
	v_cmp_gt_u32_e64 s2, 30, v13
	v_add_lshl_u32 v11, v5, v13, 2
	ds_bpermute_b32 v5, v11, v3
	ds_bpermute_b32 v6, v11, v4
	;; [unrolled: 1-line block ×4, first 2 shown]
	s_waitcnt lgkmcnt(2)
	v_add_f64 v[3:4], v[3:4], v[5:6]
	s_waitcnt lgkmcnt(0)
	v_add_f64 v[5:6], v[1:2], v[7:8]
	v_cndmask_b32_e64 v1, 0, 2, s2
	v_cmp_ne_u32_e64 s2, 31, v13
	v_add_lshl_u32 v12, v1, v13, 2
	ds_bpermute_b32 v1, v12, v3
	ds_bpermute_b32 v2, v12, v4
	;; [unrolled: 1-line block ×4, first 2 shown]
	s_waitcnt lgkmcnt(2)
	v_add_f64 v[1:2], v[3:4], v[1:2]
	s_waitcnt lgkmcnt(0)
	v_add_f64 v[3:4], v[5:6], v[7:8]
	v_add_co_ci_u32_e64 v5, null, 0, v13, s2
	v_lshlrev_b32_e32 v13, 2, v5
	ds_bpermute_b32 v5, v13, v1
	ds_bpermute_b32 v6, v13, v2
	;; [unrolled: 1-line block ×4, first 2 shown]
	v_cmpx_eq_u32_e32 0, v14
	s_cbranch_execz .LBB38_12
; %bb.11:
	s_waitcnt lgkmcnt(0)
	v_add_f64 v[3:4], v[3:4], v[7:8]
	v_add_f64 v[1:2], v[1:2], v[5:6]
	v_lshrrev_b32_e32 v5, 1, v0
	v_and_b32_e32 v5, 0xf0, v5
	ds_write_b128 v5, v[1:4]
.LBB38_12:
	s_or_b32 exec_lo, exec_lo, s3
	v_mov_b32_e32 v3, 0
	v_mov_b32_e32 v1, 0
	;; [unrolled: 1-line block ×4, first 2 shown]
	s_mov_b32 s3, exec_lo
	s_waitcnt lgkmcnt(0)
	s_barrier
	buffer_gl0_inv
	v_cmpx_gt_u32_e32 16, v0
	s_cbranch_execnz .LBB38_16
; %bb.13:
	s_or_b32 exec_lo, exec_lo, s3
	s_and_saveexec_b32 s2, s1
	s_cbranch_execnz .LBB38_17
.LBB38_14:
	s_or_b32 exec_lo, exec_lo, s2
	s_and_saveexec_b32 s1, vcc_lo
	s_cbranch_execnz .LBB38_18
.LBB38_15:
	s_endpgm
.LBB38_16:
	ds_read_b128 v[1:4], v9
	s_or_b32 exec_lo, exec_lo, s3
	s_and_saveexec_b32 s2, s1
	s_cbranch_execz .LBB38_14
.LBB38_17:
	s_waitcnt lgkmcnt(0)
	ds_bpermute_b32 v5, v10, v1
	ds_bpermute_b32 v6, v10, v2
	ds_bpermute_b32 v7, v10, v3
	ds_bpermute_b32 v8, v10, v4
	s_waitcnt lgkmcnt(2)
	v_add_f64 v[0:1], v[1:2], v[5:6]
	s_waitcnt lgkmcnt(0)
	v_add_f64 v[2:3], v[3:4], v[7:8]
	ds_bpermute_b32 v4, v11, v0
	ds_bpermute_b32 v5, v11, v1
	ds_bpermute_b32 v6, v11, v2
	ds_bpermute_b32 v7, v11, v3
	s_waitcnt lgkmcnt(2)
	v_add_f64 v[0:1], v[0:1], v[4:5]
	s_waitcnt lgkmcnt(0)
	v_add_f64 v[2:3], v[2:3], v[6:7]
	;; [unrolled: 8-line block ×4, first 2 shown]
	s_or_b32 exec_lo, exec_lo, s2
	s_and_saveexec_b32 s1, vcc_lo
	s_cbranch_execz .LBB38_15
.LBB38_18:
	s_load_dwordx4 s[8:11], s[4:5], 0x48
	v_mov_b32_e32 v0, 0
	s_waitcnt lgkmcnt(0)
	s_mul_i32 s1, s11, s0
	s_mul_hi_u32 s2, s10, s0
	s_mul_i32 s0, s10, s0
	s_add_i32 s1, s2, s1
	s_lshl_b64 s[0:1], s[0:1], 4
	s_add_u32 s2, s8, s0
	s_addc_u32 s3, s9, s1
	s_lshl_b64 s[0:1], s[6:7], 4
	s_add_u32 s0, s2, s0
	s_addc_u32 s1, s3, s1
	global_store_dwordx4 v0, v[1:4], s[0:1]
	s_endpgm
	.section	.rodata,"a",@progbits
	.p2align	6, 0x0
	.amdhsa_kernel _ZL20rocblas_trmvt_kernelILi512ELb0ELb1ELb1EPK19rocblas_complex_numIdEPS1_S4_EviT3_lllT4_lllT5_li
		.amdhsa_group_segment_fixed_size 512
		.amdhsa_private_segment_fixed_size 0
		.amdhsa_kernarg_size 92
		.amdhsa_user_sgpr_count 6
		.amdhsa_user_sgpr_private_segment_buffer 1
		.amdhsa_user_sgpr_dispatch_ptr 0
		.amdhsa_user_sgpr_queue_ptr 0
		.amdhsa_user_sgpr_kernarg_segment_ptr 1
		.amdhsa_user_sgpr_dispatch_id 0
		.amdhsa_user_sgpr_flat_scratch_init 0
		.amdhsa_user_sgpr_private_segment_size 0
		.amdhsa_wavefront_size32 1
		.amdhsa_uses_dynamic_stack 0
		.amdhsa_system_sgpr_private_segment_wavefront_offset 0
		.amdhsa_system_sgpr_workgroup_id_x 1
		.amdhsa_system_sgpr_workgroup_id_y 0
		.amdhsa_system_sgpr_workgroup_id_z 1
		.amdhsa_system_sgpr_workgroup_info 0
		.amdhsa_system_vgpr_workitem_id 0
		.amdhsa_next_free_vgpr 20
		.amdhsa_next_free_sgpr 28
		.amdhsa_reserve_vcc 1
		.amdhsa_reserve_flat_scratch 0
		.amdhsa_float_round_mode_32 0
		.amdhsa_float_round_mode_16_64 0
		.amdhsa_float_denorm_mode_32 3
		.amdhsa_float_denorm_mode_16_64 3
		.amdhsa_dx10_clamp 1
		.amdhsa_ieee_mode 1
		.amdhsa_fp16_overflow 0
		.amdhsa_workgroup_processor_mode 1
		.amdhsa_memory_ordered 1
		.amdhsa_forward_progress 1
		.amdhsa_shared_vgpr_count 0
		.amdhsa_exception_fp_ieee_invalid_op 0
		.amdhsa_exception_fp_denorm_src 0
		.amdhsa_exception_fp_ieee_div_zero 0
		.amdhsa_exception_fp_ieee_overflow 0
		.amdhsa_exception_fp_ieee_underflow 0
		.amdhsa_exception_fp_ieee_inexact 0
		.amdhsa_exception_int_div_zero 0
	.end_amdhsa_kernel
	.section	.text._ZL20rocblas_trmvt_kernelILi512ELb0ELb1ELb1EPK19rocblas_complex_numIdEPS1_S4_EviT3_lllT4_lllT5_li,"axG",@progbits,_ZL20rocblas_trmvt_kernelILi512ELb0ELb1ELb1EPK19rocblas_complex_numIdEPS1_S4_EviT3_lllT4_lllT5_li,comdat
.Lfunc_end38:
	.size	_ZL20rocblas_trmvt_kernelILi512ELb0ELb1ELb1EPK19rocblas_complex_numIdEPS1_S4_EviT3_lllT4_lllT5_li, .Lfunc_end38-_ZL20rocblas_trmvt_kernelILi512ELb0ELb1ELb1EPK19rocblas_complex_numIdEPS1_S4_EviT3_lllT4_lllT5_li
                                        ; -- End function
	.set _ZL20rocblas_trmvt_kernelILi512ELb0ELb1ELb1EPK19rocblas_complex_numIdEPS1_S4_EviT3_lllT4_lllT5_li.num_vgpr, 20
	.set _ZL20rocblas_trmvt_kernelILi512ELb0ELb1ELb1EPK19rocblas_complex_numIdEPS1_S4_EviT3_lllT4_lllT5_li.num_agpr, 0
	.set _ZL20rocblas_trmvt_kernelILi512ELb0ELb1ELb1EPK19rocblas_complex_numIdEPS1_S4_EviT3_lllT4_lllT5_li.numbered_sgpr, 28
	.set _ZL20rocblas_trmvt_kernelILi512ELb0ELb1ELb1EPK19rocblas_complex_numIdEPS1_S4_EviT3_lllT4_lllT5_li.num_named_barrier, 0
	.set _ZL20rocblas_trmvt_kernelILi512ELb0ELb1ELb1EPK19rocblas_complex_numIdEPS1_S4_EviT3_lllT4_lllT5_li.private_seg_size, 0
	.set _ZL20rocblas_trmvt_kernelILi512ELb0ELb1ELb1EPK19rocblas_complex_numIdEPS1_S4_EviT3_lllT4_lllT5_li.uses_vcc, 1
	.set _ZL20rocblas_trmvt_kernelILi512ELb0ELb1ELb1EPK19rocblas_complex_numIdEPS1_S4_EviT3_lllT4_lllT5_li.uses_flat_scratch, 0
	.set _ZL20rocblas_trmvt_kernelILi512ELb0ELb1ELb1EPK19rocblas_complex_numIdEPS1_S4_EviT3_lllT4_lllT5_li.has_dyn_sized_stack, 0
	.set _ZL20rocblas_trmvt_kernelILi512ELb0ELb1ELb1EPK19rocblas_complex_numIdEPS1_S4_EviT3_lllT4_lllT5_li.has_recursion, 0
	.set _ZL20rocblas_trmvt_kernelILi512ELb0ELb1ELb1EPK19rocblas_complex_numIdEPS1_S4_EviT3_lllT4_lllT5_li.has_indirect_call, 0
	.section	.AMDGPU.csdata,"",@progbits
; Kernel info:
; codeLenInByte = 1504
; TotalNumSgprs: 30
; NumVgprs: 20
; ScratchSize: 0
; MemoryBound: 0
; FloatMode: 240
; IeeeMode: 1
; LDSByteSize: 512 bytes/workgroup (compile time only)
; SGPRBlocks: 0
; VGPRBlocks: 2
; NumSGPRsForWavesPerEU: 30
; NumVGPRsForWavesPerEU: 20
; Occupancy: 16
; WaveLimiterHint : 0
; COMPUTE_PGM_RSRC2:SCRATCH_EN: 0
; COMPUTE_PGM_RSRC2:USER_SGPR: 6
; COMPUTE_PGM_RSRC2:TRAP_HANDLER: 0
; COMPUTE_PGM_RSRC2:TGID_X_EN: 1
; COMPUTE_PGM_RSRC2:TGID_Y_EN: 0
; COMPUTE_PGM_RSRC2:TGID_Z_EN: 1
; COMPUTE_PGM_RSRC2:TIDIG_COMP_CNT: 0
	.section	.text._ZL20rocblas_trmvn_kernelILi64ELi16ELb0ELb0EPK19rocblas_complex_numIdEPS1_S4_EviT3_lllT4_lllT5_li,"axG",@progbits,_ZL20rocblas_trmvn_kernelILi64ELi16ELb0ELb0EPK19rocblas_complex_numIdEPS1_S4_EviT3_lllT4_lllT5_li,comdat
	.globl	_ZL20rocblas_trmvn_kernelILi64ELi16ELb0ELb0EPK19rocblas_complex_numIdEPS1_S4_EviT3_lllT4_lllT5_li ; -- Begin function _ZL20rocblas_trmvn_kernelILi64ELi16ELb0ELb0EPK19rocblas_complex_numIdEPS1_S4_EviT3_lllT4_lllT5_li
	.p2align	8
	.type	_ZL20rocblas_trmvn_kernelILi64ELi16ELb0ELb0EPK19rocblas_complex_numIdEPS1_S4_EviT3_lllT4_lllT5_li,@function
_ZL20rocblas_trmvn_kernelILi64ELi16ELb0ELb0EPK19rocblas_complex_numIdEPS1_S4_EviT3_lllT4_lllT5_li: ; @_ZL20rocblas_trmvn_kernelILi64ELi16ELb0ELb0EPK19rocblas_complex_numIdEPS1_S4_EviT3_lllT4_lllT5_li
; %bb.0:
	s_clause 0x1
	s_load_dwordx16 s[8:23], s[4:5], 0x8
	s_load_dword s24, s[4:5], 0x0
	v_mov_b32_e32 v2, 0
	v_lshl_add_u32 v6, s6, 6, v0
	v_mov_b32_e32 v3, 0
	v_cmp_eq_u32_e64 s0, 0, v1
	v_mov_b32_e32 v5, v3
	v_mov_b32_e32 v4, v2
	s_waitcnt lgkmcnt(0)
	s_mul_i32 s1, s15, s7
	v_cmp_gt_i32_e32 vcc_lo, s24, v6
	s_mul_hi_u32 s3, s14, s7
	s_mul_i32 s2, s14, s7
	s_mul_i32 s6, s23, s7
	s_mul_hi_u32 s14, s22, s7
	s_add_i32 s3, s3, s1
	s_add_i32 s15, s14, s6
	s_mul_i32 s14, s22, s7
	s_and_b32 s0, s0, vcc_lo
	s_and_saveexec_b32 s1, s0
	s_cbranch_execz .LBB39_2
; %bb.1:
	v_ashrrev_i32_e32 v7, 31, v6
	v_mul_lo_u32 v8, s21, v6
	v_mad_u64_u32 v[2:3], null, s20, v6, 0
	v_mul_lo_u32 v10, v6, s13
	v_mul_lo_u32 v9, s20, v7
	;; [unrolled: 1-line block ×3, first 2 shown]
	v_mad_u64_u32 v[4:5], null, v6, s12, v[6:7]
	s_lshl_b64 s[22:23], s[2:3], 4
	s_add_u32 s0, s8, s22
	s_addc_u32 s6, s9, s23
	v_add3_u32 v3, v3, v9, v8
	s_lshl_b64 s[22:23], s[10:11], 4
	v_add3_u32 v5, v11, v5, v10
	s_add_u32 s25, s0, s22
	s_addc_u32 s6, s6, s23
	s_lshl_b64 s[22:23], s[14:15], 4
	v_lshlrev_b64 v[2:3], 4, v[2:3]
	s_add_u32 s0, s16, s22
	s_addc_u32 s26, s17, s23
	s_lshl_b64 s[22:23], s[18:19], 4
	v_lshlrev_b64 v[4:5], 4, v[4:5]
	s_add_u32 s0, s0, s22
	s_addc_u32 s22, s26, s23
	v_add_co_u32 v2, s0, s0, v2
	v_add_co_ci_u32_e64 v3, null, s22, v3, s0
	v_add_co_u32 v7, s0, s25, v4
	v_add_co_ci_u32_e64 v8, null, s6, v5, s0
	global_load_dwordx4 v[2:5], v[2:3], off
	global_load_dwordx4 v[7:10], v[7:8], off
	s_waitcnt vmcnt(0)
	v_mul_f64 v[11:12], v[4:5], v[9:10]
	v_mul_f64 v[9:10], v[2:3], v[9:10]
	v_fma_f64 v[2:3], v[2:3], v[7:8], -v[11:12]
	v_fma_f64 v[4:5], v[4:5], v[7:8], v[9:10]
.LBB39_2:
	s_or_b32 exec_lo, exec_lo, s1
	s_load_dword s6, s[4:5], 0x6c
	s_mov_b32 s22, exec_lo
	v_cmpx_gt_i32_e64 s24, v1
	s_cbranch_execz .LBB39_8
; %bb.3:
	v_mad_u64_u32 v[8:9], null, s12, v1, 0
	v_mad_u64_u32 v[10:11], null, s20, v1, 0
	s_lshl_b64 s[0:1], s[18:19], 4
	s_lshl_b64 s[14:15], s[14:15], 4
	s_add_u32 s0, s16, s0
	v_ashrrev_i32_e32 v7, 31, v6
	s_addc_u32 s1, s17, s1
	s_add_u32 s16, s0, s14
	v_mad_u64_u32 v[12:13], null, s13, v1, v[9:10]
	s_addc_u32 s17, s1, s15
	s_lshl_b64 s[0:1], s[2:3], 4
	s_lshl_b64 s[2:3], s[10:11], 4
	;; [unrolled: 1-line block ×3, first 2 shown]
	s_add_u32 s0, s2, s0
	s_addc_u32 s1, s3, s1
	v_mov_b32_e32 v9, v12
	v_mad_u64_u32 v[11:12], null, s21, v1, v[11:12]
	v_lshlrev_b64 v[12:13], 4, v[6:7]
	s_lshl_b64 s[2:3], s[12:13], 8
	v_lshlrev_b64 v[8:9], 4, v[8:9]
	v_add_co_u32 v14, s0, s0, v8
	v_add_co_ci_u32_e64 v9, null, s1, v9, s0
	v_lshlrev_b64 v[7:8], 4, v[10:11]
	v_add_co_u32 v10, s0, v14, v12
	v_add_co_ci_u32_e64 v9, null, v9, v13, s0
	v_add_co_u32 v7, s0, s16, v7
	v_add_co_ci_u32_e64 v8, null, s17, v8, s0
	;; [unrolled: 2-line block ×5, first 2 shown]
	v_mov_b32_e32 v11, v1
	s_mov_b32 s8, 0
	s_inst_prefetch 0x1
	s_branch .LBB39_5
	.p2align	6
.LBB39_4:                               ;   in Loop: Header=BB39_5 Depth=1
	s_or_b32 exec_lo, exec_lo, s1
	v_add_nc_u32_e32 v11, 16, v11
	v_add_co_u32 v7, s0, v7, s14
	v_add_co_ci_u32_e64 v8, null, s15, v8, s0
	v_cmp_le_i32_e64 s0, s24, v11
	v_add_co_u32 v9, s1, v9, s2
	v_add_co_ci_u32_e64 v10, null, s3, v10, s1
	s_or_b32 s8, s0, s8
	s_andn2_b32 exec_lo, exec_lo, s8
	s_cbranch_execz .LBB39_7
.LBB39_5:                               ; =>This Inner Loop Header: Depth=1
	s_mov_b32 s1, exec_lo
	v_cmpx_gt_i32_e64 v11, v6
	s_cbranch_execz .LBB39_4
; %bb.6:                                ;   in Loop: Header=BB39_5 Depth=1
	global_load_dwordx4 v[12:15], v[7:8], off offset:-8
	global_load_dwordx4 v[16:19], v[9:10], off offset:-8
	s_waitcnt vmcnt(0)
	v_mul_f64 v[20:21], v[14:15], v[18:19]
	v_mul_f64 v[18:19], v[12:13], v[18:19]
	v_fma_f64 v[12:13], v[12:13], v[16:17], -v[20:21]
	v_fma_f64 v[14:15], v[14:15], v[16:17], v[18:19]
	v_add_f64 v[2:3], v[2:3], v[12:13]
	v_add_f64 v[4:5], v[4:5], v[14:15]
	s_branch .LBB39_4
.LBB39_7:
	s_inst_prefetch 0x2
	s_or_b32 exec_lo, exec_lo, s8
.LBB39_8:
	s_or_b32 exec_lo, exec_lo, s22
	v_lshlrev_b32_e32 v7, 4, v0
	s_waitcnt lgkmcnt(0)
	s_and_b32 s1, 0xffff, s6
	s_mov_b32 s2, exec_lo
	v_mad_u32_u24 v0, v1, s1, v0
	v_lshl_add_u32 v8, v1, 10, v7
	ds_write_b128 v8, v[2:5]
	s_waitcnt lgkmcnt(0)
	s_barrier
	buffer_gl0_inv
	v_cmpx_gt_u32_e32 64, v0
	s_cbranch_execz .LBB39_11
; %bb.9:
	v_mul_u32_u24_e32 v0, s1, v1
	v_lshl_add_u32 v0, v0, 4, v7
	ds_read_b128 v[1:4], v0
	ds_read_b128 v[7:10], v0 offset:1024
	s_waitcnt lgkmcnt(0)
	v_add_f64 v[11:12], v[1:2], v[7:8]
	v_add_f64 v[13:14], v[3:4], v[9:10]
	ds_read_b128 v[1:4], v0 offset:2048
	ds_read_b128 v[7:10], v0 offset:3072
	s_waitcnt lgkmcnt(1)
	v_add_f64 v[1:2], v[11:12], v[1:2]
	v_add_f64 v[3:4], v[13:14], v[3:4]
	s_waitcnt lgkmcnt(0)
	v_add_f64 v[11:12], v[1:2], v[7:8]
	v_add_f64 v[13:14], v[3:4], v[9:10]
	ds_read_b128 v[1:4], v0 offset:4096
	ds_read_b128 v[7:10], v0 offset:5120
	s_waitcnt lgkmcnt(1)
	v_add_f64 v[1:2], v[11:12], v[1:2]
	v_add_f64 v[3:4], v[13:14], v[3:4]
	;; [unrolled: 8-line block ×7, first 2 shown]
	s_waitcnt lgkmcnt(0)
	v_add_f64 v[1:2], v[1:2], v[7:8]
	v_add_f64 v[3:4], v[3:4], v[9:10]
	ds_write_b128 v0, v[1:4]
	s_and_b32 exec_lo, exec_lo, vcc_lo
	s_cbranch_execz .LBB39_11
; %bb.10:
	s_load_dwordx4 s[0:3], s[4:5], 0x48
	ds_read2_b64 v[0:3], v0 offset1:1
	v_ashrrev_i32_e32 v7, 31, v6
	v_lshlrev_b64 v[4:5], 4, v[6:7]
	s_waitcnt lgkmcnt(0)
	s_mul_i32 s3, s3, s7
	s_mul_hi_u32 s4, s2, s7
	s_mul_i32 s2, s2, s7
	s_add_i32 s3, s4, s3
	s_lshl_b64 s[2:3], s[2:3], 4
	s_add_u32 s0, s0, s2
	s_addc_u32 s1, s1, s3
	v_add_co_u32 v4, vcc_lo, s0, v4
	v_add_co_ci_u32_e64 v5, null, s1, v5, vcc_lo
	global_store_dwordx4 v[4:5], v[0:3], off
.LBB39_11:
	s_endpgm
	.section	.rodata,"a",@progbits
	.p2align	6, 0x0
	.amdhsa_kernel _ZL20rocblas_trmvn_kernelILi64ELi16ELb0ELb0EPK19rocblas_complex_numIdEPS1_S4_EviT3_lllT4_lllT5_li
		.amdhsa_group_segment_fixed_size 16384
		.amdhsa_private_segment_fixed_size 0
		.amdhsa_kernarg_size 352
		.amdhsa_user_sgpr_count 6
		.amdhsa_user_sgpr_private_segment_buffer 1
		.amdhsa_user_sgpr_dispatch_ptr 0
		.amdhsa_user_sgpr_queue_ptr 0
		.amdhsa_user_sgpr_kernarg_segment_ptr 1
		.amdhsa_user_sgpr_dispatch_id 0
		.amdhsa_user_sgpr_flat_scratch_init 0
		.amdhsa_user_sgpr_private_segment_size 0
		.amdhsa_wavefront_size32 1
		.amdhsa_uses_dynamic_stack 0
		.amdhsa_system_sgpr_private_segment_wavefront_offset 0
		.amdhsa_system_sgpr_workgroup_id_x 1
		.amdhsa_system_sgpr_workgroup_id_y 0
		.amdhsa_system_sgpr_workgroup_id_z 1
		.amdhsa_system_sgpr_workgroup_info 0
		.amdhsa_system_vgpr_workitem_id 1
		.amdhsa_next_free_vgpr 22
		.amdhsa_next_free_sgpr 27
		.amdhsa_reserve_vcc 1
		.amdhsa_reserve_flat_scratch 0
		.amdhsa_float_round_mode_32 0
		.amdhsa_float_round_mode_16_64 0
		.amdhsa_float_denorm_mode_32 3
		.amdhsa_float_denorm_mode_16_64 3
		.amdhsa_dx10_clamp 1
		.amdhsa_ieee_mode 1
		.amdhsa_fp16_overflow 0
		.amdhsa_workgroup_processor_mode 1
		.amdhsa_memory_ordered 1
		.amdhsa_forward_progress 1
		.amdhsa_shared_vgpr_count 0
		.amdhsa_exception_fp_ieee_invalid_op 0
		.amdhsa_exception_fp_denorm_src 0
		.amdhsa_exception_fp_ieee_div_zero 0
		.amdhsa_exception_fp_ieee_overflow 0
		.amdhsa_exception_fp_ieee_underflow 0
		.amdhsa_exception_fp_ieee_inexact 0
		.amdhsa_exception_int_div_zero 0
	.end_amdhsa_kernel
	.section	.text._ZL20rocblas_trmvn_kernelILi64ELi16ELb0ELb0EPK19rocblas_complex_numIdEPS1_S4_EviT3_lllT4_lllT5_li,"axG",@progbits,_ZL20rocblas_trmvn_kernelILi64ELi16ELb0ELb0EPK19rocblas_complex_numIdEPS1_S4_EviT3_lllT4_lllT5_li,comdat
.Lfunc_end39:
	.size	_ZL20rocblas_trmvn_kernelILi64ELi16ELb0ELb0EPK19rocblas_complex_numIdEPS1_S4_EviT3_lllT4_lllT5_li, .Lfunc_end39-_ZL20rocblas_trmvn_kernelILi64ELi16ELb0ELb0EPK19rocblas_complex_numIdEPS1_S4_EviT3_lllT4_lllT5_li
                                        ; -- End function
	.set _ZL20rocblas_trmvn_kernelILi64ELi16ELb0ELb0EPK19rocblas_complex_numIdEPS1_S4_EviT3_lllT4_lllT5_li.num_vgpr, 22
	.set _ZL20rocblas_trmvn_kernelILi64ELi16ELb0ELb0EPK19rocblas_complex_numIdEPS1_S4_EviT3_lllT4_lllT5_li.num_agpr, 0
	.set _ZL20rocblas_trmvn_kernelILi64ELi16ELb0ELb0EPK19rocblas_complex_numIdEPS1_S4_EviT3_lllT4_lllT5_li.numbered_sgpr, 27
	.set _ZL20rocblas_trmvn_kernelILi64ELi16ELb0ELb0EPK19rocblas_complex_numIdEPS1_S4_EviT3_lllT4_lllT5_li.num_named_barrier, 0
	.set _ZL20rocblas_trmvn_kernelILi64ELi16ELb0ELb0EPK19rocblas_complex_numIdEPS1_S4_EviT3_lllT4_lllT5_li.private_seg_size, 0
	.set _ZL20rocblas_trmvn_kernelILi64ELi16ELb0ELb0EPK19rocblas_complex_numIdEPS1_S4_EviT3_lllT4_lllT5_li.uses_vcc, 1
	.set _ZL20rocblas_trmvn_kernelILi64ELi16ELb0ELb0EPK19rocblas_complex_numIdEPS1_S4_EviT3_lllT4_lllT5_li.uses_flat_scratch, 0
	.set _ZL20rocblas_trmvn_kernelILi64ELi16ELb0ELb0EPK19rocblas_complex_numIdEPS1_S4_EviT3_lllT4_lllT5_li.has_dyn_sized_stack, 0
	.set _ZL20rocblas_trmvn_kernelILi64ELi16ELb0ELb0EPK19rocblas_complex_numIdEPS1_S4_EviT3_lllT4_lllT5_li.has_recursion, 0
	.set _ZL20rocblas_trmvn_kernelILi64ELi16ELb0ELb0EPK19rocblas_complex_numIdEPS1_S4_EviT3_lllT4_lllT5_li.has_indirect_call, 0
	.section	.AMDGPU.csdata,"",@progbits
; Kernel info:
; codeLenInByte = 1348
; TotalNumSgprs: 29
; NumVgprs: 22
; ScratchSize: 0
; MemoryBound: 0
; FloatMode: 240
; IeeeMode: 1
; LDSByteSize: 16384 bytes/workgroup (compile time only)
; SGPRBlocks: 0
; VGPRBlocks: 2
; NumSGPRsForWavesPerEU: 29
; NumVGPRsForWavesPerEU: 22
; Occupancy: 16
; WaveLimiterHint : 0
; COMPUTE_PGM_RSRC2:SCRATCH_EN: 0
; COMPUTE_PGM_RSRC2:USER_SGPR: 6
; COMPUTE_PGM_RSRC2:TRAP_HANDLER: 0
; COMPUTE_PGM_RSRC2:TGID_X_EN: 1
; COMPUTE_PGM_RSRC2:TGID_Y_EN: 0
; COMPUTE_PGM_RSRC2:TGID_Z_EN: 1
; COMPUTE_PGM_RSRC2:TIDIG_COMP_CNT: 1
	.section	.text._ZL20rocblas_trmvt_kernelILi512ELb0ELb0ELb0EPK19rocblas_complex_numIdEPS1_S4_EviT3_lllT4_lllT5_li,"axG",@progbits,_ZL20rocblas_trmvt_kernelILi512ELb0ELb0ELb0EPK19rocblas_complex_numIdEPS1_S4_EviT3_lllT4_lllT5_li,comdat
	.globl	_ZL20rocblas_trmvt_kernelILi512ELb0ELb0ELb0EPK19rocblas_complex_numIdEPS1_S4_EviT3_lllT4_lllT5_li ; -- Begin function _ZL20rocblas_trmvt_kernelILi512ELb0ELb0ELb0EPK19rocblas_complex_numIdEPS1_S4_EviT3_lllT4_lllT5_li
	.p2align	8
	.type	_ZL20rocblas_trmvt_kernelILi512ELb0ELb0ELb0EPK19rocblas_complex_numIdEPS1_S4_EviT3_lllT4_lllT5_li,@function
_ZL20rocblas_trmvt_kernelILi512ELb0ELb0ELb0EPK19rocblas_complex_numIdEPS1_S4_EviT3_lllT4_lllT5_li: ; @_ZL20rocblas_trmvt_kernelILi512ELb0ELb0ELb0EPK19rocblas_complex_numIdEPS1_S4_EviT3_lllT4_lllT5_li
; %bb.0:
	s_clause 0x1
	s_load_dwordx16 s[8:23], s[4:5], 0x8
	s_load_dword s3, s[4:5], 0x0
	s_mov_b32 s0, s7
	s_ashr_i32 s7, s6, 31
	v_mov_b32_e32 v1, 0
	v_mov_b32_e32 v3, 0
	v_cmp_eq_u32_e32 vcc_lo, 0, v0
	v_mov_b32_e32 v2, 0
	v_mov_b32_e32 v4, 0
	s_waitcnt lgkmcnt(0)
	s_mul_i32 s2, s15, s0
	v_cmp_gt_i32_e64 s1, s3, v0
	s_mul_hi_u32 s15, s14, s0
	s_mul_hi_u32 s25, s12, s6
	s_mul_i32 s26, s12, s7
	s_mul_i32 s23, s23, s0
	v_cndmask_b32_e64 v5, 0, v0, s1
	s_mul_hi_u32 s24, s22, s0
	s_mul_i32 s13, s13, s6
	s_add_i32 s15, s15, s2
	s_add_i32 s2, s25, s26
	v_lshlrev_b32_e32 v5, 4, v5
	s_mul_i32 s14, s14, s0
	s_add_i32 s23, s24, s23
	s_mul_i32 s22, s22, s0
	s_add_i32 s13, s2, s13
	s_mul_i32 s12, s12, s6
	s_and_saveexec_b32 s24, vcc_lo
	s_cbranch_execz .LBB40_2
; %bb.1:
	s_lshl_b64 s[26:27], s[14:15], 4
	s_add_u32 s2, s8, s26
	s_addc_u32 s25, s9, s27
	s_lshl_b64 s[26:27], s[10:11], 4
	s_add_u32 s2, s2, s26
	s_addc_u32 s25, s25, s27
	s_lshl_b64 s[26:27], s[22:23], 4
	v_add_co_u32 v1, s2, s2, v5
	s_add_u32 s28, s16, s26
	s_addc_u32 s29, s17, s27
	s_lshl_b64 s[26:27], s[18:19], 4
	v_add_co_ci_u32_e64 v2, null, s25, 0, s2
	s_add_u32 s28, s28, s26
	s_addc_u32 s29, s29, s27
	s_lshl_b64 s[26:27], s[12:13], 4
	s_mul_hi_u32 s25, s20, s6
	v_add_co_u32 v1, s2, v1, s26
	v_add_co_ci_u32_e64 v2, null, s27, v2, s2
	s_lshl_b64 s[26:27], s[6:7], 4
	v_add_co_u32 v1, s2, v1, s26
	v_add_co_ci_u32_e64 v2, null, s27, v2, s2
	s_mul_i32 s2, s20, s7
	s_mul_i32 s27, s21, s6
	s_add_i32 s2, s25, s2
	global_load_dwordx4 v[1:4], v[1:2], off
	s_mul_i32 s26, s20, s6
	s_add_i32 s27, s2, s27
	s_lshl_b64 s[26:27], s[26:27], 4
	s_add_u32 s26, s28, s26
	s_addc_u32 s27, s29, s27
	s_load_dwordx4 s[28:31], s[26:27], 0x0
	s_waitcnt vmcnt(0) lgkmcnt(0)
	v_mul_f64 v[6:7], v[3:4], s[30:31]
	v_mul_f64 v[8:9], v[1:2], s[30:31]
	v_fma_f64 v[1:2], v[1:2], s[28:29], -v[6:7]
	v_fma_f64 v[3:4], v[3:4], s[28:29], v[8:9]
	v_add_f64 v[1:2], v[1:2], 0
	v_add_f64 v[3:4], v[3:4], 0
.LBB40_2:
	s_or_b32 exec_lo, exec_lo, s24
	s_and_saveexec_b32 s24, s1
	s_cbranch_execz .LBB40_8
; %bb.3:
	v_mad_u64_u32 v[6:7], null, s20, v0, 0
	s_lshl_b64 s[18:19], s[18:19], 4
	s_lshl_b64 s[22:23], s[22:23], 4
	s_add_u32 s1, s16, s18
	s_addc_u32 s2, s17, s19
	s_add_u32 s1, s1, s22
	s_addc_u32 s2, s2, s23
	v_mad_u64_u32 v[7:8], null, s21, v0, v[7:8]
	s_lshl_b64 s[16:17], s[12:13], 4
	s_lshl_b64 s[14:15], s[14:15], 4
	;; [unrolled: 1-line block ×3, first 2 shown]
	s_add_u32 s14, s16, s14
	s_addc_u32 s15, s17, s15
	s_lshl_b64 s[10:11], s[10:11], 4
	v_lshlrev_b64 v[6:7], 4, v[6:7]
	s_add_u32 s10, s14, s10
	s_addc_u32 s11, s15, s11
	s_add_u32 s8, s8, s10
	s_addc_u32 s9, s9, s11
	v_add_co_u32 v6, s1, s1, v6
	v_add_co_ci_u32_e64 v7, null, s2, v7, s1
	v_add_co_u32 v8, s1, s8, v5
	v_add_co_ci_u32_e64 v9, null, s9, 0, s1
	;; [unrolled: 2-line block ×4, first 2 shown]
	v_mov_b32_e32 v9, v0
	s_mov_b32 s8, 0
	s_inst_prefetch 0x1
	s_branch .LBB40_5
	.p2align	6
.LBB40_4:                               ;   in Loop: Header=BB40_5 Depth=1
	s_or_b32 exec_lo, exec_lo, s2
	v_add_nc_u32_e32 v9, 0x200, v9
	v_add_co_u32 v5, s1, v5, s12
	v_add_co_ci_u32_e64 v6, null, s13, v6, s1
	v_cmp_le_i32_e64 s1, s3, v9
	v_add_co_u32 v7, s2, 0x2000, v7
	v_add_co_ci_u32_e64 v8, null, 0, v8, s2
	s_or_b32 s8, s1, s8
	s_andn2_b32 exec_lo, exec_lo, s8
	s_cbranch_execz .LBB40_7
.LBB40_5:                               ; =>This Inner Loop Header: Depth=1
	s_mov_b32 s2, exec_lo
	v_cmpx_gt_i32_e64 s6, v9
	s_cbranch_execz .LBB40_4
; %bb.6:                                ;   in Loop: Header=BB40_5 Depth=1
	global_load_dwordx4 v[10:13], v[7:8], off offset:-8
	global_load_dwordx4 v[14:17], v[5:6], off offset:-8
	s_waitcnt vmcnt(0)
	v_mul_f64 v[18:19], v[12:13], v[16:17]
	v_mul_f64 v[16:17], v[10:11], v[16:17]
	v_fma_f64 v[10:11], v[10:11], v[14:15], -v[18:19]
	v_fma_f64 v[12:13], v[12:13], v[14:15], v[16:17]
	v_add_f64 v[1:2], v[1:2], v[10:11]
	v_add_f64 v[3:4], v[3:4], v[12:13]
	s_branch .LBB40_4
.LBB40_7:
	s_inst_prefetch 0x2
	s_or_b32 exec_lo, exec_lo, s8
.LBB40_8:
	s_or_b32 exec_lo, exec_lo, s24
	v_and_b32_e32 v14, 31, v0
	v_cmp_gt_u32_e64 s1, 32, v0
	v_lshlrev_b32_e32 v9, 4, v14
	s_and_saveexec_b32 s2, s1
	s_cbranch_execz .LBB40_10
; %bb.9:
	v_mov_b32_e32 v5, 0
	v_mov_b32_e32 v6, v5
	;; [unrolled: 1-line block ×4, first 2 shown]
	ds_write_b128 v9, v[5:8]
.LBB40_10:
	s_or_b32 exec_lo, exec_lo, s2
	v_mbcnt_lo_u32_b32 v13, -1, 0
	s_mov_b32 s3, exec_lo
	s_waitcnt lgkmcnt(0)
	s_barrier
	buffer_gl0_inv
	v_lshl_or_b32 v8, v13, 2, 64
	v_cmp_gt_u32_e64 s2, 24, v13
	ds_bpermute_b32 v5, v8, v1
	ds_bpermute_b32 v6, v8, v2
	;; [unrolled: 1-line block ×4, first 2 shown]
	s_waitcnt lgkmcnt(2)
	v_add_f64 v[1:2], v[1:2], v[5:6]
	v_cndmask_b32_e64 v5, 0, 8, s2
	s_waitcnt lgkmcnt(0)
	v_add_f64 v[3:4], v[3:4], v[7:8]
	v_cmp_gt_u32_e64 s2, 28, v13
	v_add_lshl_u32 v10, v5, v13, 2
	ds_bpermute_b32 v5, v10, v1
	ds_bpermute_b32 v6, v10, v2
	;; [unrolled: 1-line block ×4, first 2 shown]
	s_waitcnt lgkmcnt(2)
	v_add_f64 v[1:2], v[1:2], v[5:6]
	v_cndmask_b32_e64 v5, 0, 4, s2
	s_waitcnt lgkmcnt(0)
	v_add_f64 v[3:4], v[3:4], v[7:8]
	v_cmp_gt_u32_e64 s2, 30, v13
	v_add_lshl_u32 v11, v5, v13, 2
	ds_bpermute_b32 v5, v11, v1
	ds_bpermute_b32 v6, v11, v2
	;; [unrolled: 1-line block ×4, first 2 shown]
	s_waitcnt lgkmcnt(2)
	v_add_f64 v[1:2], v[1:2], v[5:6]
	v_cndmask_b32_e64 v5, 0, 2, s2
	s_waitcnt lgkmcnt(0)
	v_add_f64 v[3:4], v[3:4], v[7:8]
	v_cmp_ne_u32_e64 s2, 31, v13
	v_add_lshl_u32 v12, v5, v13, 2
	ds_bpermute_b32 v5, v12, v1
	ds_bpermute_b32 v6, v12, v2
	ds_bpermute_b32 v7, v12, v3
	ds_bpermute_b32 v8, v12, v4
	s_waitcnt lgkmcnt(2)
	v_add_f64 v[1:2], v[1:2], v[5:6]
	v_add_co_ci_u32_e64 v5, null, 0, v13, s2
	s_waitcnt lgkmcnt(0)
	v_add_f64 v[3:4], v[3:4], v[7:8]
	v_lshlrev_b32_e32 v13, 2, v5
	ds_bpermute_b32 v5, v13, v1
	ds_bpermute_b32 v6, v13, v2
	ds_bpermute_b32 v7, v13, v3
	ds_bpermute_b32 v8, v13, v4
	v_cmpx_eq_u32_e32 0, v14
	s_cbranch_execz .LBB40_12
; %bb.11:
	s_waitcnt lgkmcnt(0)
	v_add_f64 v[3:4], v[3:4], v[7:8]
	v_add_f64 v[1:2], v[1:2], v[5:6]
	v_lshrrev_b32_e32 v5, 1, v0
	v_and_b32_e32 v5, 0xf0, v5
	ds_write_b128 v5, v[1:4]
.LBB40_12:
	s_or_b32 exec_lo, exec_lo, s3
	v_mov_b32_e32 v3, 0
	v_mov_b32_e32 v1, 0
	;; [unrolled: 1-line block ×4, first 2 shown]
	s_mov_b32 s3, exec_lo
	s_waitcnt lgkmcnt(0)
	s_barrier
	buffer_gl0_inv
	v_cmpx_gt_u32_e32 16, v0
	s_cbranch_execnz .LBB40_16
; %bb.13:
	s_or_b32 exec_lo, exec_lo, s3
	s_and_saveexec_b32 s2, s1
	s_cbranch_execnz .LBB40_17
.LBB40_14:
	s_or_b32 exec_lo, exec_lo, s2
	s_and_saveexec_b32 s1, vcc_lo
	s_cbranch_execnz .LBB40_18
.LBB40_15:
	s_endpgm
.LBB40_16:
	ds_read_b128 v[1:4], v9
	s_or_b32 exec_lo, exec_lo, s3
	s_and_saveexec_b32 s2, s1
	s_cbranch_execz .LBB40_14
.LBB40_17:
	s_waitcnt lgkmcnt(0)
	ds_bpermute_b32 v5, v10, v1
	ds_bpermute_b32 v6, v10, v2
	ds_bpermute_b32 v7, v10, v3
	ds_bpermute_b32 v8, v10, v4
	s_waitcnt lgkmcnt(2)
	v_add_f64 v[0:1], v[1:2], v[5:6]
	s_waitcnt lgkmcnt(0)
	v_add_f64 v[2:3], v[3:4], v[7:8]
	ds_bpermute_b32 v4, v11, v0
	ds_bpermute_b32 v5, v11, v1
	ds_bpermute_b32 v6, v11, v2
	ds_bpermute_b32 v7, v11, v3
	s_waitcnt lgkmcnt(2)
	v_add_f64 v[0:1], v[0:1], v[4:5]
	s_waitcnt lgkmcnt(0)
	v_add_f64 v[2:3], v[2:3], v[6:7]
	ds_bpermute_b32 v4, v12, v0
	ds_bpermute_b32 v5, v12, v1
	ds_bpermute_b32 v6, v12, v2
	ds_bpermute_b32 v7, v12, v3
	s_waitcnt lgkmcnt(2)
	v_add_f64 v[0:1], v[0:1], v[4:5]
	s_waitcnt lgkmcnt(0)
	v_add_f64 v[3:4], v[2:3], v[6:7]
	ds_bpermute_b32 v5, v13, v0
	ds_bpermute_b32 v6, v13, v1
	ds_bpermute_b32 v7, v13, v3
	ds_bpermute_b32 v8, v13, v4
	s_waitcnt lgkmcnt(2)
	v_add_f64 v[1:2], v[0:1], v[5:6]
	s_waitcnt lgkmcnt(0)
	v_add_f64 v[3:4], v[3:4], v[7:8]
	s_or_b32 exec_lo, exec_lo, s2
	s_and_saveexec_b32 s1, vcc_lo
	s_cbranch_execz .LBB40_15
.LBB40_18:
	s_load_dwordx4 s[8:11], s[4:5], 0x48
	v_mov_b32_e32 v0, 0
	s_waitcnt lgkmcnt(0)
	s_mul_i32 s1, s11, s0
	s_mul_hi_u32 s2, s10, s0
	s_mul_i32 s0, s10, s0
	s_add_i32 s1, s2, s1
	s_lshl_b64 s[0:1], s[0:1], 4
	s_add_u32 s2, s8, s0
	s_addc_u32 s3, s9, s1
	s_lshl_b64 s[0:1], s[6:7], 4
	s_add_u32 s0, s2, s0
	s_addc_u32 s1, s3, s1
	global_store_dwordx4 v0, v[1:4], s[0:1]
	s_endpgm
	.section	.rodata,"a",@progbits
	.p2align	6, 0x0
	.amdhsa_kernel _ZL20rocblas_trmvt_kernelILi512ELb0ELb0ELb0EPK19rocblas_complex_numIdEPS1_S4_EviT3_lllT4_lllT5_li
		.amdhsa_group_segment_fixed_size 512
		.amdhsa_private_segment_fixed_size 0
		.amdhsa_kernarg_size 92
		.amdhsa_user_sgpr_count 6
		.amdhsa_user_sgpr_private_segment_buffer 1
		.amdhsa_user_sgpr_dispatch_ptr 0
		.amdhsa_user_sgpr_queue_ptr 0
		.amdhsa_user_sgpr_kernarg_segment_ptr 1
		.amdhsa_user_sgpr_dispatch_id 0
		.amdhsa_user_sgpr_flat_scratch_init 0
		.amdhsa_user_sgpr_private_segment_size 0
		.amdhsa_wavefront_size32 1
		.amdhsa_uses_dynamic_stack 0
		.amdhsa_system_sgpr_private_segment_wavefront_offset 0
		.amdhsa_system_sgpr_workgroup_id_x 1
		.amdhsa_system_sgpr_workgroup_id_y 0
		.amdhsa_system_sgpr_workgroup_id_z 1
		.amdhsa_system_sgpr_workgroup_info 0
		.amdhsa_system_vgpr_workitem_id 0
		.amdhsa_next_free_vgpr 20
		.amdhsa_next_free_sgpr 32
		.amdhsa_reserve_vcc 1
		.amdhsa_reserve_flat_scratch 0
		.amdhsa_float_round_mode_32 0
		.amdhsa_float_round_mode_16_64 0
		.amdhsa_float_denorm_mode_32 3
		.amdhsa_float_denorm_mode_16_64 3
		.amdhsa_dx10_clamp 1
		.amdhsa_ieee_mode 1
		.amdhsa_fp16_overflow 0
		.amdhsa_workgroup_processor_mode 1
		.amdhsa_memory_ordered 1
		.amdhsa_forward_progress 1
		.amdhsa_shared_vgpr_count 0
		.amdhsa_exception_fp_ieee_invalid_op 0
		.amdhsa_exception_fp_denorm_src 0
		.amdhsa_exception_fp_ieee_div_zero 0
		.amdhsa_exception_fp_ieee_overflow 0
		.amdhsa_exception_fp_ieee_underflow 0
		.amdhsa_exception_fp_ieee_inexact 0
		.amdhsa_exception_int_div_zero 0
	.end_amdhsa_kernel
	.section	.text._ZL20rocblas_trmvt_kernelILi512ELb0ELb0ELb0EPK19rocblas_complex_numIdEPS1_S4_EviT3_lllT4_lllT5_li,"axG",@progbits,_ZL20rocblas_trmvt_kernelILi512ELb0ELb0ELb0EPK19rocblas_complex_numIdEPS1_S4_EviT3_lllT4_lllT5_li,comdat
.Lfunc_end40:
	.size	_ZL20rocblas_trmvt_kernelILi512ELb0ELb0ELb0EPK19rocblas_complex_numIdEPS1_S4_EviT3_lllT4_lllT5_li, .Lfunc_end40-_ZL20rocblas_trmvt_kernelILi512ELb0ELb0ELb0EPK19rocblas_complex_numIdEPS1_S4_EviT3_lllT4_lllT5_li
                                        ; -- End function
	.set _ZL20rocblas_trmvt_kernelILi512ELb0ELb0ELb0EPK19rocblas_complex_numIdEPS1_S4_EviT3_lllT4_lllT5_li.num_vgpr, 20
	.set _ZL20rocblas_trmvt_kernelILi512ELb0ELb0ELb0EPK19rocblas_complex_numIdEPS1_S4_EviT3_lllT4_lllT5_li.num_agpr, 0
	.set _ZL20rocblas_trmvt_kernelILi512ELb0ELb0ELb0EPK19rocblas_complex_numIdEPS1_S4_EviT3_lllT4_lllT5_li.numbered_sgpr, 32
	.set _ZL20rocblas_trmvt_kernelILi512ELb0ELb0ELb0EPK19rocblas_complex_numIdEPS1_S4_EviT3_lllT4_lllT5_li.num_named_barrier, 0
	.set _ZL20rocblas_trmvt_kernelILi512ELb0ELb0ELb0EPK19rocblas_complex_numIdEPS1_S4_EviT3_lllT4_lllT5_li.private_seg_size, 0
	.set _ZL20rocblas_trmvt_kernelILi512ELb0ELb0ELb0EPK19rocblas_complex_numIdEPS1_S4_EviT3_lllT4_lllT5_li.uses_vcc, 1
	.set _ZL20rocblas_trmvt_kernelILi512ELb0ELb0ELb0EPK19rocblas_complex_numIdEPS1_S4_EviT3_lllT4_lllT5_li.uses_flat_scratch, 0
	.set _ZL20rocblas_trmvt_kernelILi512ELb0ELb0ELb0EPK19rocblas_complex_numIdEPS1_S4_EviT3_lllT4_lllT5_li.has_dyn_sized_stack, 0
	.set _ZL20rocblas_trmvt_kernelILi512ELb0ELb0ELb0EPK19rocblas_complex_numIdEPS1_S4_EviT3_lllT4_lllT5_li.has_recursion, 0
	.set _ZL20rocblas_trmvt_kernelILi512ELb0ELb0ELb0EPK19rocblas_complex_numIdEPS1_S4_EviT3_lllT4_lllT5_li.has_indirect_call, 0
	.section	.AMDGPU.csdata,"",@progbits
; Kernel info:
; codeLenInByte = 1632
; TotalNumSgprs: 34
; NumVgprs: 20
; ScratchSize: 0
; MemoryBound: 0
; FloatMode: 240
; IeeeMode: 1
; LDSByteSize: 512 bytes/workgroup (compile time only)
; SGPRBlocks: 0
; VGPRBlocks: 2
; NumSGPRsForWavesPerEU: 34
; NumVGPRsForWavesPerEU: 20
; Occupancy: 16
; WaveLimiterHint : 0
; COMPUTE_PGM_RSRC2:SCRATCH_EN: 0
; COMPUTE_PGM_RSRC2:USER_SGPR: 6
; COMPUTE_PGM_RSRC2:TRAP_HANDLER: 0
; COMPUTE_PGM_RSRC2:TGID_X_EN: 1
; COMPUTE_PGM_RSRC2:TGID_Y_EN: 0
; COMPUTE_PGM_RSRC2:TGID_Z_EN: 1
; COMPUTE_PGM_RSRC2:TIDIG_COMP_CNT: 0
	.section	.text._ZL20rocblas_trmvt_kernelILi512ELb0ELb1ELb0EPK19rocblas_complex_numIdEPS1_S4_EviT3_lllT4_lllT5_li,"axG",@progbits,_ZL20rocblas_trmvt_kernelILi512ELb0ELb1ELb0EPK19rocblas_complex_numIdEPS1_S4_EviT3_lllT4_lllT5_li,comdat
	.globl	_ZL20rocblas_trmvt_kernelILi512ELb0ELb1ELb0EPK19rocblas_complex_numIdEPS1_S4_EviT3_lllT4_lllT5_li ; -- Begin function _ZL20rocblas_trmvt_kernelILi512ELb0ELb1ELb0EPK19rocblas_complex_numIdEPS1_S4_EviT3_lllT4_lllT5_li
	.p2align	8
	.type	_ZL20rocblas_trmvt_kernelILi512ELb0ELb1ELb0EPK19rocblas_complex_numIdEPS1_S4_EviT3_lllT4_lllT5_li,@function
_ZL20rocblas_trmvt_kernelILi512ELb0ELb1ELb0EPK19rocblas_complex_numIdEPS1_S4_EviT3_lllT4_lllT5_li: ; @_ZL20rocblas_trmvt_kernelILi512ELb0ELb1ELb0EPK19rocblas_complex_numIdEPS1_S4_EviT3_lllT4_lllT5_li
; %bb.0:
	s_clause 0x1
	s_load_dwordx16 s[8:23], s[4:5], 0x8
	s_load_dword s3, s[4:5], 0x0
	s_mov_b32 s0, s7
	s_ashr_i32 s7, s6, 31
	v_mov_b32_e32 v1, 0
	v_mov_b32_e32 v3, 0
	v_cmp_eq_u32_e32 vcc_lo, 0, v0
	v_mov_b32_e32 v2, 0
	v_mov_b32_e32 v4, 0
	s_waitcnt lgkmcnt(0)
	s_mul_i32 s2, s15, s0
	v_cmp_gt_i32_e64 s1, s3, v0
	s_mul_hi_u32 s15, s14, s0
	s_mul_hi_u32 s25, s12, s6
	s_mul_i32 s26, s12, s7
	s_mul_i32 s23, s23, s0
	v_cndmask_b32_e64 v5, 0, v0, s1
	s_mul_hi_u32 s24, s22, s0
	s_mul_i32 s13, s13, s6
	s_add_i32 s15, s15, s2
	s_add_i32 s2, s25, s26
	v_lshlrev_b32_e32 v5, 4, v5
	s_mul_i32 s14, s14, s0
	s_add_i32 s23, s24, s23
	s_mul_i32 s22, s22, s0
	s_add_i32 s13, s2, s13
	s_mul_i32 s12, s12, s6
	s_and_saveexec_b32 s24, vcc_lo
	s_cbranch_execz .LBB41_2
; %bb.1:
	s_lshl_b64 s[26:27], s[14:15], 4
	s_add_u32 s2, s8, s26
	s_addc_u32 s25, s9, s27
	s_lshl_b64 s[26:27], s[10:11], 4
	s_add_u32 s2, s2, s26
	s_addc_u32 s25, s25, s27
	s_lshl_b64 s[26:27], s[22:23], 4
	v_add_co_u32 v1, s2, s2, v5
	s_add_u32 s28, s16, s26
	s_addc_u32 s29, s17, s27
	s_lshl_b64 s[26:27], s[18:19], 4
	v_add_co_ci_u32_e64 v2, null, s25, 0, s2
	s_add_u32 s28, s28, s26
	s_addc_u32 s29, s29, s27
	s_lshl_b64 s[26:27], s[12:13], 4
	s_mul_hi_u32 s25, s20, s6
	v_add_co_u32 v1, s2, v1, s26
	v_add_co_ci_u32_e64 v2, null, s27, v2, s2
	s_lshl_b64 s[26:27], s[6:7], 4
	v_add_co_u32 v1, s2, v1, s26
	v_add_co_ci_u32_e64 v2, null, s27, v2, s2
	s_mul_i32 s2, s20, s7
	s_mul_i32 s27, s21, s6
	s_add_i32 s2, s25, s2
	global_load_dwordx4 v[1:4], v[1:2], off
	s_mul_i32 s26, s20, s6
	s_add_i32 s27, s2, s27
	s_lshl_b64 s[26:27], s[26:27], 4
	s_add_u32 s26, s28, s26
	s_addc_u32 s27, s29, s27
	s_load_dwordx4 s[28:31], s[26:27], 0x0
	s_waitcnt vmcnt(0) lgkmcnt(0)
	v_mul_f64 v[6:7], v[3:4], s[30:31]
	v_mul_f64 v[3:4], v[3:4], s[28:29]
	v_fma_f64 v[6:7], v[1:2], s[28:29], v[6:7]
	v_fma_f64 v[3:4], v[1:2], s[30:31], -v[3:4]
	v_add_f64 v[1:2], v[6:7], 0
	v_add_f64 v[3:4], v[3:4], 0
.LBB41_2:
	s_or_b32 exec_lo, exec_lo, s24
	s_and_saveexec_b32 s24, s1
	s_cbranch_execz .LBB41_8
; %bb.3:
	v_mad_u64_u32 v[6:7], null, s20, v0, 0
	s_lshl_b64 s[18:19], s[18:19], 4
	s_lshl_b64 s[22:23], s[22:23], 4
	s_add_u32 s1, s16, s18
	s_addc_u32 s2, s17, s19
	s_add_u32 s1, s1, s22
	s_addc_u32 s2, s2, s23
	v_mad_u64_u32 v[7:8], null, s21, v0, v[7:8]
	s_lshl_b64 s[16:17], s[12:13], 4
	s_lshl_b64 s[14:15], s[14:15], 4
	;; [unrolled: 1-line block ×3, first 2 shown]
	s_add_u32 s14, s16, s14
	s_addc_u32 s15, s17, s15
	s_lshl_b64 s[10:11], s[10:11], 4
	v_lshlrev_b64 v[6:7], 4, v[6:7]
	s_add_u32 s10, s14, s10
	s_addc_u32 s11, s15, s11
	s_add_u32 s8, s8, s10
	s_addc_u32 s9, s9, s11
	v_add_co_u32 v6, s1, s1, v6
	v_add_co_ci_u32_e64 v7, null, s2, v7, s1
	v_add_co_u32 v8, s1, s8, v5
	v_add_co_ci_u32_e64 v9, null, s9, 0, s1
	;; [unrolled: 2-line block ×4, first 2 shown]
	v_mov_b32_e32 v9, v0
	s_mov_b32 s8, 0
	s_inst_prefetch 0x1
	s_branch .LBB41_5
	.p2align	6
.LBB41_4:                               ;   in Loop: Header=BB41_5 Depth=1
	s_or_b32 exec_lo, exec_lo, s2
	v_add_nc_u32_e32 v9, 0x200, v9
	v_add_co_u32 v5, s1, v5, s12
	v_add_co_ci_u32_e64 v6, null, s13, v6, s1
	v_cmp_le_i32_e64 s1, s3, v9
	v_add_co_u32 v7, s2, 0x2000, v7
	v_add_co_ci_u32_e64 v8, null, 0, v8, s2
	s_or_b32 s8, s1, s8
	s_andn2_b32 exec_lo, exec_lo, s8
	s_cbranch_execz .LBB41_7
.LBB41_5:                               ; =>This Inner Loop Header: Depth=1
	s_mov_b32 s2, exec_lo
	v_cmpx_gt_i32_e64 s6, v9
	s_cbranch_execz .LBB41_4
; %bb.6:                                ;   in Loop: Header=BB41_5 Depth=1
	global_load_dwordx4 v[10:13], v[7:8], off offset:-8
	global_load_dwordx4 v[14:17], v[5:6], off offset:-8
	s_waitcnt vmcnt(0)
	v_mul_f64 v[18:19], v[12:13], v[16:17]
	v_mul_f64 v[12:13], v[12:13], v[14:15]
	v_fma_f64 v[14:15], v[10:11], v[14:15], v[18:19]
	v_fma_f64 v[10:11], v[10:11], v[16:17], -v[12:13]
	v_add_f64 v[1:2], v[1:2], v[14:15]
	v_add_f64 v[3:4], v[3:4], v[10:11]
	s_branch .LBB41_4
.LBB41_7:
	s_inst_prefetch 0x2
	s_or_b32 exec_lo, exec_lo, s8
.LBB41_8:
	s_or_b32 exec_lo, exec_lo, s24
	v_and_b32_e32 v14, 31, v0
	v_cmp_gt_u32_e64 s1, 32, v0
	v_lshlrev_b32_e32 v9, 4, v14
	s_and_saveexec_b32 s2, s1
	s_cbranch_execz .LBB41_10
; %bb.9:
	v_mov_b32_e32 v5, 0
	v_mov_b32_e32 v6, v5
	;; [unrolled: 1-line block ×4, first 2 shown]
	ds_write_b128 v9, v[5:8]
.LBB41_10:
	s_or_b32 exec_lo, exec_lo, s2
	v_mbcnt_lo_u32_b32 v13, -1, 0
	s_mov_b32 s3, exec_lo
	s_waitcnt lgkmcnt(0)
	s_barrier
	buffer_gl0_inv
	v_lshl_or_b32 v8, v13, 2, 64
	v_cmp_gt_u32_e64 s2, 24, v13
	ds_bpermute_b32 v5, v8, v1
	ds_bpermute_b32 v6, v8, v2
	;; [unrolled: 1-line block ×4, first 2 shown]
	s_waitcnt lgkmcnt(2)
	v_add_f64 v[1:2], v[1:2], v[5:6]
	v_cndmask_b32_e64 v5, 0, 8, s2
	s_waitcnt lgkmcnt(0)
	v_add_f64 v[3:4], v[3:4], v[7:8]
	v_cmp_gt_u32_e64 s2, 28, v13
	v_add_lshl_u32 v10, v5, v13, 2
	ds_bpermute_b32 v5, v10, v1
	ds_bpermute_b32 v6, v10, v2
	;; [unrolled: 1-line block ×4, first 2 shown]
	s_waitcnt lgkmcnt(2)
	v_add_f64 v[1:2], v[1:2], v[5:6]
	v_cndmask_b32_e64 v5, 0, 4, s2
	s_waitcnt lgkmcnt(0)
	v_add_f64 v[3:4], v[3:4], v[7:8]
	v_cmp_gt_u32_e64 s2, 30, v13
	v_add_lshl_u32 v11, v5, v13, 2
	ds_bpermute_b32 v5, v11, v1
	ds_bpermute_b32 v6, v11, v2
	;; [unrolled: 1-line block ×4, first 2 shown]
	s_waitcnt lgkmcnt(2)
	v_add_f64 v[1:2], v[1:2], v[5:6]
	v_cndmask_b32_e64 v5, 0, 2, s2
	s_waitcnt lgkmcnt(0)
	v_add_f64 v[3:4], v[3:4], v[7:8]
	v_cmp_ne_u32_e64 s2, 31, v13
	v_add_lshl_u32 v12, v5, v13, 2
	ds_bpermute_b32 v5, v12, v1
	ds_bpermute_b32 v6, v12, v2
	;; [unrolled: 1-line block ×4, first 2 shown]
	s_waitcnt lgkmcnt(2)
	v_add_f64 v[1:2], v[1:2], v[5:6]
	v_add_co_ci_u32_e64 v5, null, 0, v13, s2
	s_waitcnt lgkmcnt(0)
	v_add_f64 v[3:4], v[3:4], v[7:8]
	v_lshlrev_b32_e32 v13, 2, v5
	ds_bpermute_b32 v5, v13, v1
	ds_bpermute_b32 v6, v13, v2
	;; [unrolled: 1-line block ×4, first 2 shown]
	v_cmpx_eq_u32_e32 0, v14
	s_cbranch_execz .LBB41_12
; %bb.11:
	s_waitcnt lgkmcnt(0)
	v_add_f64 v[3:4], v[3:4], v[7:8]
	v_add_f64 v[1:2], v[1:2], v[5:6]
	v_lshrrev_b32_e32 v5, 1, v0
	v_and_b32_e32 v5, 0xf0, v5
	ds_write_b128 v5, v[1:4]
.LBB41_12:
	s_or_b32 exec_lo, exec_lo, s3
	v_mov_b32_e32 v3, 0
	v_mov_b32_e32 v1, 0
	;; [unrolled: 1-line block ×4, first 2 shown]
	s_mov_b32 s3, exec_lo
	s_waitcnt lgkmcnt(0)
	s_barrier
	buffer_gl0_inv
	v_cmpx_gt_u32_e32 16, v0
	s_cbranch_execnz .LBB41_16
; %bb.13:
	s_or_b32 exec_lo, exec_lo, s3
	s_and_saveexec_b32 s2, s1
	s_cbranch_execnz .LBB41_17
.LBB41_14:
	s_or_b32 exec_lo, exec_lo, s2
	s_and_saveexec_b32 s1, vcc_lo
	s_cbranch_execnz .LBB41_18
.LBB41_15:
	s_endpgm
.LBB41_16:
	ds_read_b128 v[1:4], v9
	s_or_b32 exec_lo, exec_lo, s3
	s_and_saveexec_b32 s2, s1
	s_cbranch_execz .LBB41_14
.LBB41_17:
	s_waitcnt lgkmcnt(0)
	ds_bpermute_b32 v5, v10, v1
	ds_bpermute_b32 v6, v10, v2
	ds_bpermute_b32 v7, v10, v3
	ds_bpermute_b32 v8, v10, v4
	s_waitcnt lgkmcnt(2)
	v_add_f64 v[0:1], v[1:2], v[5:6]
	s_waitcnt lgkmcnt(0)
	v_add_f64 v[2:3], v[3:4], v[7:8]
	ds_bpermute_b32 v4, v11, v0
	ds_bpermute_b32 v5, v11, v1
	ds_bpermute_b32 v6, v11, v2
	ds_bpermute_b32 v7, v11, v3
	s_waitcnt lgkmcnt(2)
	v_add_f64 v[0:1], v[0:1], v[4:5]
	s_waitcnt lgkmcnt(0)
	v_add_f64 v[2:3], v[2:3], v[6:7]
	;; [unrolled: 8-line block ×4, first 2 shown]
	s_or_b32 exec_lo, exec_lo, s2
	s_and_saveexec_b32 s1, vcc_lo
	s_cbranch_execz .LBB41_15
.LBB41_18:
	s_load_dwordx4 s[8:11], s[4:5], 0x48
	v_mov_b32_e32 v0, 0
	s_waitcnt lgkmcnt(0)
	s_mul_i32 s1, s11, s0
	s_mul_hi_u32 s2, s10, s0
	s_mul_i32 s0, s10, s0
	s_add_i32 s1, s2, s1
	s_lshl_b64 s[0:1], s[0:1], 4
	s_add_u32 s2, s8, s0
	s_addc_u32 s3, s9, s1
	s_lshl_b64 s[0:1], s[6:7], 4
	s_add_u32 s0, s2, s0
	s_addc_u32 s1, s3, s1
	global_store_dwordx4 v0, v[1:4], s[0:1]
	s_endpgm
	.section	.rodata,"a",@progbits
	.p2align	6, 0x0
	.amdhsa_kernel _ZL20rocblas_trmvt_kernelILi512ELb0ELb1ELb0EPK19rocblas_complex_numIdEPS1_S4_EviT3_lllT4_lllT5_li
		.amdhsa_group_segment_fixed_size 512
		.amdhsa_private_segment_fixed_size 0
		.amdhsa_kernarg_size 92
		.amdhsa_user_sgpr_count 6
		.amdhsa_user_sgpr_private_segment_buffer 1
		.amdhsa_user_sgpr_dispatch_ptr 0
		.amdhsa_user_sgpr_queue_ptr 0
		.amdhsa_user_sgpr_kernarg_segment_ptr 1
		.amdhsa_user_sgpr_dispatch_id 0
		.amdhsa_user_sgpr_flat_scratch_init 0
		.amdhsa_user_sgpr_private_segment_size 0
		.amdhsa_wavefront_size32 1
		.amdhsa_uses_dynamic_stack 0
		.amdhsa_system_sgpr_private_segment_wavefront_offset 0
		.amdhsa_system_sgpr_workgroup_id_x 1
		.amdhsa_system_sgpr_workgroup_id_y 0
		.amdhsa_system_sgpr_workgroup_id_z 1
		.amdhsa_system_sgpr_workgroup_info 0
		.amdhsa_system_vgpr_workitem_id 0
		.amdhsa_next_free_vgpr 20
		.amdhsa_next_free_sgpr 32
		.amdhsa_reserve_vcc 1
		.amdhsa_reserve_flat_scratch 0
		.amdhsa_float_round_mode_32 0
		.amdhsa_float_round_mode_16_64 0
		.amdhsa_float_denorm_mode_32 3
		.amdhsa_float_denorm_mode_16_64 3
		.amdhsa_dx10_clamp 1
		.amdhsa_ieee_mode 1
		.amdhsa_fp16_overflow 0
		.amdhsa_workgroup_processor_mode 1
		.amdhsa_memory_ordered 1
		.amdhsa_forward_progress 1
		.amdhsa_shared_vgpr_count 0
		.amdhsa_exception_fp_ieee_invalid_op 0
		.amdhsa_exception_fp_denorm_src 0
		.amdhsa_exception_fp_ieee_div_zero 0
		.amdhsa_exception_fp_ieee_overflow 0
		.amdhsa_exception_fp_ieee_underflow 0
		.amdhsa_exception_fp_ieee_inexact 0
		.amdhsa_exception_int_div_zero 0
	.end_amdhsa_kernel
	.section	.text._ZL20rocblas_trmvt_kernelILi512ELb0ELb1ELb0EPK19rocblas_complex_numIdEPS1_S4_EviT3_lllT4_lllT5_li,"axG",@progbits,_ZL20rocblas_trmvt_kernelILi512ELb0ELb1ELb0EPK19rocblas_complex_numIdEPS1_S4_EviT3_lllT4_lllT5_li,comdat
.Lfunc_end41:
	.size	_ZL20rocblas_trmvt_kernelILi512ELb0ELb1ELb0EPK19rocblas_complex_numIdEPS1_S4_EviT3_lllT4_lllT5_li, .Lfunc_end41-_ZL20rocblas_trmvt_kernelILi512ELb0ELb1ELb0EPK19rocblas_complex_numIdEPS1_S4_EviT3_lllT4_lllT5_li
                                        ; -- End function
	.set _ZL20rocblas_trmvt_kernelILi512ELb0ELb1ELb0EPK19rocblas_complex_numIdEPS1_S4_EviT3_lllT4_lllT5_li.num_vgpr, 20
	.set _ZL20rocblas_trmvt_kernelILi512ELb0ELb1ELb0EPK19rocblas_complex_numIdEPS1_S4_EviT3_lllT4_lllT5_li.num_agpr, 0
	.set _ZL20rocblas_trmvt_kernelILi512ELb0ELb1ELb0EPK19rocblas_complex_numIdEPS1_S4_EviT3_lllT4_lllT5_li.numbered_sgpr, 32
	.set _ZL20rocblas_trmvt_kernelILi512ELb0ELb1ELb0EPK19rocblas_complex_numIdEPS1_S4_EviT3_lllT4_lllT5_li.num_named_barrier, 0
	.set _ZL20rocblas_trmvt_kernelILi512ELb0ELb1ELb0EPK19rocblas_complex_numIdEPS1_S4_EviT3_lllT4_lllT5_li.private_seg_size, 0
	.set _ZL20rocblas_trmvt_kernelILi512ELb0ELb1ELb0EPK19rocblas_complex_numIdEPS1_S4_EviT3_lllT4_lllT5_li.uses_vcc, 1
	.set _ZL20rocblas_trmvt_kernelILi512ELb0ELb1ELb0EPK19rocblas_complex_numIdEPS1_S4_EviT3_lllT4_lllT5_li.uses_flat_scratch, 0
	.set _ZL20rocblas_trmvt_kernelILi512ELb0ELb1ELb0EPK19rocblas_complex_numIdEPS1_S4_EviT3_lllT4_lllT5_li.has_dyn_sized_stack, 0
	.set _ZL20rocblas_trmvt_kernelILi512ELb0ELb1ELb0EPK19rocblas_complex_numIdEPS1_S4_EviT3_lllT4_lllT5_li.has_recursion, 0
	.set _ZL20rocblas_trmvt_kernelILi512ELb0ELb1ELb0EPK19rocblas_complex_numIdEPS1_S4_EviT3_lllT4_lllT5_li.has_indirect_call, 0
	.section	.AMDGPU.csdata,"",@progbits
; Kernel info:
; codeLenInByte = 1632
; TotalNumSgprs: 34
; NumVgprs: 20
; ScratchSize: 0
; MemoryBound: 0
; FloatMode: 240
; IeeeMode: 1
; LDSByteSize: 512 bytes/workgroup (compile time only)
; SGPRBlocks: 0
; VGPRBlocks: 2
; NumSGPRsForWavesPerEU: 34
; NumVGPRsForWavesPerEU: 20
; Occupancy: 16
; WaveLimiterHint : 0
; COMPUTE_PGM_RSRC2:SCRATCH_EN: 0
; COMPUTE_PGM_RSRC2:USER_SGPR: 6
; COMPUTE_PGM_RSRC2:TRAP_HANDLER: 0
; COMPUTE_PGM_RSRC2:TGID_X_EN: 1
; COMPUTE_PGM_RSRC2:TGID_Y_EN: 0
; COMPUTE_PGM_RSRC2:TGID_Z_EN: 1
; COMPUTE_PGM_RSRC2:TIDIG_COMP_CNT: 0
	.section	.text._ZL20rocblas_trmvn_kernelILi64ELi16ELb1ELb1EPK19rocblas_complex_numIdEPS1_S4_EviT3_lllT4_lllT5_li,"axG",@progbits,_ZL20rocblas_trmvn_kernelILi64ELi16ELb1ELb1EPK19rocblas_complex_numIdEPS1_S4_EviT3_lllT4_lllT5_li,comdat
	.globl	_ZL20rocblas_trmvn_kernelILi64ELi16ELb1ELb1EPK19rocblas_complex_numIdEPS1_S4_EviT3_lllT4_lllT5_li ; -- Begin function _ZL20rocblas_trmvn_kernelILi64ELi16ELb1ELb1EPK19rocblas_complex_numIdEPS1_S4_EviT3_lllT4_lllT5_li
	.p2align	8
	.type	_ZL20rocblas_trmvn_kernelILi64ELi16ELb1ELb1EPK19rocblas_complex_numIdEPS1_S4_EviT3_lllT4_lllT5_li,@function
_ZL20rocblas_trmvn_kernelILi64ELi16ELb1ELb1EPK19rocblas_complex_numIdEPS1_S4_EviT3_lllT4_lllT5_li: ; @_ZL20rocblas_trmvn_kernelILi64ELi16ELb1ELb1EPK19rocblas_complex_numIdEPS1_S4_EviT3_lllT4_lllT5_li
; %bb.0:
	s_clause 0x1
	s_load_dwordx16 s[8:23], s[4:5], 0x8
	s_load_dword s24, s[4:5], 0x0
	v_lshl_add_u32 v6, s6, 6, v0
	v_mov_b32_e32 v2, 0
	v_mov_b32_e32 v3, 0
	v_cmp_eq_u32_e64 s0, 0, v1
	v_mov_b32_e32 v5, v3
	v_mov_b32_e32 v4, v2
	s_waitcnt lgkmcnt(0)
	s_mul_i32 s1, s23, s7
	v_cmp_gt_i32_e32 vcc_lo, s24, v6
	s_mul_hi_u32 s2, s22, s7
	s_add_i32 s3, s2, s1
	s_mul_i32 s2, s22, s7
	s_and_b32 s0, s0, vcc_lo
	s_and_saveexec_b32 s1, s0
	s_cbranch_execz .LBB42_2
; %bb.1:
	v_ashrrev_i32_e32 v4, 31, v6
	v_mul_lo_u32 v5, s21, v6
	v_mad_u64_u32 v[2:3], null, s20, v6, 0
	s_lshl_b64 s[22:23], s[2:3], 4
	v_mul_lo_u32 v4, s20, v4
	s_add_u32 s0, s16, s22
	s_addc_u32 s6, s17, s23
	s_lshl_b64 s[22:23], s[18:19], 4
	s_add_u32 s0, s0, s22
	s_addc_u32 s6, s6, s23
	v_add3_u32 v3, v3, v4, v5
	v_lshlrev_b64 v[2:3], 4, v[2:3]
	v_add_co_u32 v2, s0, s0, v2
	v_add_co_ci_u32_e64 v3, null, s6, v3, s0
	global_load_dwordx4 v[2:5], v[2:3], off
.LBB42_2:
	s_or_b32 exec_lo, exec_lo, s1
	s_load_dword s6, s[4:5], 0x6c
	s_mov_b32 s22, exec_lo
	v_cmpx_gt_i32_e64 s24, v1
	s_cbranch_execz .LBB42_8
; %bb.3:
	v_mad_u64_u32 v[8:9], null, s12, v1, 0
	v_mad_u64_u32 v[10:11], null, s20, v1, 0
	s_lshl_b64 s[0:1], s[2:3], 4
	s_lshl_b64 s[2:3], s[18:19], 4
	s_mul_i32 s15, s15, s7
	s_add_u32 s2, s16, s2
	s_mul_hi_u32 s18, s14, s7
	s_addc_u32 s3, s17, s3
	v_mad_u64_u32 v[12:13], null, s13, v1, v[9:10]
	s_add_u32 s16, s2, s0
	v_ashrrev_i32_e32 v7, 31, v6
	s_mul_i32 s14, s14, s7
	s_addc_u32 s17, s3, s1
	s_add_i32 s15, s18, s15
	s_lshl_b64 s[0:1], s[10:11], 4
	v_mov_b32_e32 v9, v12
	v_mad_u64_u32 v[11:12], null, s21, v1, v[11:12]
	s_lshl_b64 s[10:11], s[14:15], 4
	s_lshl_b64 s[2:3], s[20:21], 8
	v_lshlrev_b64 v[8:9], 4, v[8:9]
	s_add_u32 s0, s0, s10
	v_lshlrev_b64 v[12:13], 4, v[6:7]
	s_addc_u32 s1, s1, s11
	s_mov_b32 s10, 0
	v_add_co_u32 v14, s0, s0, v8
	v_add_co_ci_u32_e64 v9, null, s1, v9, s0
	v_lshlrev_b64 v[7:8], 4, v[10:11]
	v_add_co_u32 v10, s0, v14, v12
	v_add_co_ci_u32_e64 v9, null, v9, v13, s0
	v_add_co_u32 v7, s0, s16, v7
	v_add_co_ci_u32_e64 v8, null, s17, v8, s0
	;; [unrolled: 2-line block ×5, first 2 shown]
	v_mov_b32_e32 v11, v1
	s_lshl_b64 s[8:9], s[12:13], 8
	s_inst_prefetch 0x1
	s_branch .LBB42_5
	.p2align	6
.LBB42_4:                               ;   in Loop: Header=BB42_5 Depth=1
	s_or_b32 exec_lo, exec_lo, s0
	v_add_nc_u32_e32 v11, 16, v11
	v_add_co_u32 v7, s0, v7, s2
	v_add_co_ci_u32_e64 v8, null, s3, v8, s0
	v_cmp_le_i32_e64 s0, s24, v11
	v_add_co_u32 v9, s1, v9, s8
	v_add_co_ci_u32_e64 v10, null, s9, v10, s1
	s_or_b32 s10, s0, s10
	s_andn2_b32 exec_lo, exec_lo, s10
	s_cbranch_execz .LBB42_7
.LBB42_5:                               ; =>This Inner Loop Header: Depth=1
	v_cmp_lt_i32_e64 s0, v11, v6
	s_and_b32 s1, vcc_lo, s0
	s_and_saveexec_b32 s0, s1
	s_cbranch_execz .LBB42_4
; %bb.6:                                ;   in Loop: Header=BB42_5 Depth=1
	global_load_dwordx4 v[12:15], v[7:8], off offset:-8
	global_load_dwordx4 v[16:19], v[9:10], off offset:-8
	s_waitcnt vmcnt(0)
	v_mul_f64 v[20:21], v[14:15], v[18:19]
	v_mul_f64 v[18:19], v[12:13], v[18:19]
	v_fma_f64 v[12:13], v[12:13], v[16:17], -v[20:21]
	v_fma_f64 v[14:15], v[14:15], v[16:17], v[18:19]
	v_add_f64 v[2:3], v[2:3], v[12:13]
	v_add_f64 v[4:5], v[4:5], v[14:15]
	s_branch .LBB42_4
.LBB42_7:
	s_inst_prefetch 0x2
	s_or_b32 exec_lo, exec_lo, s10
.LBB42_8:
	s_or_b32 exec_lo, exec_lo, s22
	v_lshlrev_b32_e32 v7, 4, v0
	s_waitcnt lgkmcnt(0)
	s_and_b32 s1, 0xffff, s6
	s_mov_b32 s2, exec_lo
	v_mad_u32_u24 v0, v1, s1, v0
	v_lshl_add_u32 v8, v1, 10, v7
	s_waitcnt vmcnt(0)
	ds_write_b128 v8, v[2:5]
	s_waitcnt lgkmcnt(0)
	s_barrier
	buffer_gl0_inv
	v_cmpx_gt_u32_e32 64, v0
	s_cbranch_execz .LBB42_11
; %bb.9:
	v_mul_u32_u24_e32 v0, s1, v1
	v_lshl_add_u32 v0, v0, 4, v7
	ds_read_b128 v[1:4], v0
	ds_read_b128 v[7:10], v0 offset:1024
	s_waitcnt lgkmcnt(0)
	v_add_f64 v[11:12], v[1:2], v[7:8]
	v_add_f64 v[13:14], v[3:4], v[9:10]
	ds_read_b128 v[1:4], v0 offset:2048
	ds_read_b128 v[7:10], v0 offset:3072
	s_waitcnt lgkmcnt(1)
	v_add_f64 v[1:2], v[11:12], v[1:2]
	v_add_f64 v[3:4], v[13:14], v[3:4]
	s_waitcnt lgkmcnt(0)
	v_add_f64 v[11:12], v[1:2], v[7:8]
	v_add_f64 v[13:14], v[3:4], v[9:10]
	ds_read_b128 v[1:4], v0 offset:4096
	ds_read_b128 v[7:10], v0 offset:5120
	s_waitcnt lgkmcnt(1)
	v_add_f64 v[1:2], v[11:12], v[1:2]
	v_add_f64 v[3:4], v[13:14], v[3:4]
	;; [unrolled: 8-line block ×7, first 2 shown]
	s_waitcnt lgkmcnt(0)
	v_add_f64 v[1:2], v[1:2], v[7:8]
	v_add_f64 v[3:4], v[3:4], v[9:10]
	ds_write_b128 v0, v[1:4]
	s_and_b32 exec_lo, exec_lo, vcc_lo
	s_cbranch_execz .LBB42_11
; %bb.10:
	s_load_dwordx4 s[0:3], s[4:5], 0x48
	ds_read2_b64 v[0:3], v0 offset1:1
	v_ashrrev_i32_e32 v7, 31, v6
	v_lshlrev_b64 v[4:5], 4, v[6:7]
	s_waitcnt lgkmcnt(0)
	s_mul_i32 s3, s3, s7
	s_mul_hi_u32 s4, s2, s7
	s_mul_i32 s2, s2, s7
	s_add_i32 s3, s4, s3
	s_lshl_b64 s[2:3], s[2:3], 4
	s_add_u32 s0, s0, s2
	s_addc_u32 s1, s1, s3
	v_add_co_u32 v4, vcc_lo, s0, v4
	v_add_co_ci_u32_e64 v5, null, s1, v5, vcc_lo
	global_store_dwordx4 v[4:5], v[0:3], off
.LBB42_11:
	s_endpgm
	.section	.rodata,"a",@progbits
	.p2align	6, 0x0
	.amdhsa_kernel _ZL20rocblas_trmvn_kernelILi64ELi16ELb1ELb1EPK19rocblas_complex_numIdEPS1_S4_EviT3_lllT4_lllT5_li
		.amdhsa_group_segment_fixed_size 16384
		.amdhsa_private_segment_fixed_size 0
		.amdhsa_kernarg_size 352
		.amdhsa_user_sgpr_count 6
		.amdhsa_user_sgpr_private_segment_buffer 1
		.amdhsa_user_sgpr_dispatch_ptr 0
		.amdhsa_user_sgpr_queue_ptr 0
		.amdhsa_user_sgpr_kernarg_segment_ptr 1
		.amdhsa_user_sgpr_dispatch_id 0
		.amdhsa_user_sgpr_flat_scratch_init 0
		.amdhsa_user_sgpr_private_segment_size 0
		.amdhsa_wavefront_size32 1
		.amdhsa_uses_dynamic_stack 0
		.amdhsa_system_sgpr_private_segment_wavefront_offset 0
		.amdhsa_system_sgpr_workgroup_id_x 1
		.amdhsa_system_sgpr_workgroup_id_y 0
		.amdhsa_system_sgpr_workgroup_id_z 1
		.amdhsa_system_sgpr_workgroup_info 0
		.amdhsa_system_vgpr_workitem_id 1
		.amdhsa_next_free_vgpr 22
		.amdhsa_next_free_sgpr 25
		.amdhsa_reserve_vcc 1
		.amdhsa_reserve_flat_scratch 0
		.amdhsa_float_round_mode_32 0
		.amdhsa_float_round_mode_16_64 0
		.amdhsa_float_denorm_mode_32 3
		.amdhsa_float_denorm_mode_16_64 3
		.amdhsa_dx10_clamp 1
		.amdhsa_ieee_mode 1
		.amdhsa_fp16_overflow 0
		.amdhsa_workgroup_processor_mode 1
		.amdhsa_memory_ordered 1
		.amdhsa_forward_progress 1
		.amdhsa_shared_vgpr_count 0
		.amdhsa_exception_fp_ieee_invalid_op 0
		.amdhsa_exception_fp_denorm_src 0
		.amdhsa_exception_fp_ieee_div_zero 0
		.amdhsa_exception_fp_ieee_overflow 0
		.amdhsa_exception_fp_ieee_underflow 0
		.amdhsa_exception_fp_ieee_inexact 0
		.amdhsa_exception_int_div_zero 0
	.end_amdhsa_kernel
	.section	.text._ZL20rocblas_trmvn_kernelILi64ELi16ELb1ELb1EPK19rocblas_complex_numIdEPS1_S4_EviT3_lllT4_lllT5_li,"axG",@progbits,_ZL20rocblas_trmvn_kernelILi64ELi16ELb1ELb1EPK19rocblas_complex_numIdEPS1_S4_EviT3_lllT4_lllT5_li,comdat
.Lfunc_end42:
	.size	_ZL20rocblas_trmvn_kernelILi64ELi16ELb1ELb1EPK19rocblas_complex_numIdEPS1_S4_EviT3_lllT4_lllT5_li, .Lfunc_end42-_ZL20rocblas_trmvn_kernelILi64ELi16ELb1ELb1EPK19rocblas_complex_numIdEPS1_S4_EviT3_lllT4_lllT5_li
                                        ; -- End function
	.set _ZL20rocblas_trmvn_kernelILi64ELi16ELb1ELb1EPK19rocblas_complex_numIdEPS1_S4_EviT3_lllT4_lllT5_li.num_vgpr, 22
	.set _ZL20rocblas_trmvn_kernelILi64ELi16ELb1ELb1EPK19rocblas_complex_numIdEPS1_S4_EviT3_lllT4_lllT5_li.num_agpr, 0
	.set _ZL20rocblas_trmvn_kernelILi64ELi16ELb1ELb1EPK19rocblas_complex_numIdEPS1_S4_EviT3_lllT4_lllT5_li.numbered_sgpr, 25
	.set _ZL20rocblas_trmvn_kernelILi64ELi16ELb1ELb1EPK19rocblas_complex_numIdEPS1_S4_EviT3_lllT4_lllT5_li.num_named_barrier, 0
	.set _ZL20rocblas_trmvn_kernelILi64ELi16ELb1ELb1EPK19rocblas_complex_numIdEPS1_S4_EviT3_lllT4_lllT5_li.private_seg_size, 0
	.set _ZL20rocblas_trmvn_kernelILi64ELi16ELb1ELb1EPK19rocblas_complex_numIdEPS1_S4_EviT3_lllT4_lllT5_li.uses_vcc, 1
	.set _ZL20rocblas_trmvn_kernelILi64ELi16ELb1ELb1EPK19rocblas_complex_numIdEPS1_S4_EviT3_lllT4_lllT5_li.uses_flat_scratch, 0
	.set _ZL20rocblas_trmvn_kernelILi64ELi16ELb1ELb1EPK19rocblas_complex_numIdEPS1_S4_EviT3_lllT4_lllT5_li.has_dyn_sized_stack, 0
	.set _ZL20rocblas_trmvn_kernelILi64ELi16ELb1ELb1EPK19rocblas_complex_numIdEPS1_S4_EviT3_lllT4_lllT5_li.has_recursion, 0
	.set _ZL20rocblas_trmvn_kernelILi64ELi16ELb1ELb1EPK19rocblas_complex_numIdEPS1_S4_EviT3_lllT4_lllT5_li.has_indirect_call, 0
	.section	.AMDGPU.csdata,"",@progbits
; Kernel info:
; codeLenInByte = 1228
; TotalNumSgprs: 27
; NumVgprs: 22
; ScratchSize: 0
; MemoryBound: 0
; FloatMode: 240
; IeeeMode: 1
; LDSByteSize: 16384 bytes/workgroup (compile time only)
; SGPRBlocks: 0
; VGPRBlocks: 2
; NumSGPRsForWavesPerEU: 27
; NumVGPRsForWavesPerEU: 22
; Occupancy: 16
; WaveLimiterHint : 0
; COMPUTE_PGM_RSRC2:SCRATCH_EN: 0
; COMPUTE_PGM_RSRC2:USER_SGPR: 6
; COMPUTE_PGM_RSRC2:TRAP_HANDLER: 0
; COMPUTE_PGM_RSRC2:TGID_X_EN: 1
; COMPUTE_PGM_RSRC2:TGID_Y_EN: 0
; COMPUTE_PGM_RSRC2:TGID_Z_EN: 1
; COMPUTE_PGM_RSRC2:TIDIG_COMP_CNT: 1
	.section	.text._ZL20rocblas_trmvt_kernelILi512ELb1ELb0ELb1EPK19rocblas_complex_numIdEPS1_S4_EviT3_lllT4_lllT5_li,"axG",@progbits,_ZL20rocblas_trmvt_kernelILi512ELb1ELb0ELb1EPK19rocblas_complex_numIdEPS1_S4_EviT3_lllT4_lllT5_li,comdat
	.globl	_ZL20rocblas_trmvt_kernelILi512ELb1ELb0ELb1EPK19rocblas_complex_numIdEPS1_S4_EviT3_lllT4_lllT5_li ; -- Begin function _ZL20rocblas_trmvt_kernelILi512ELb1ELb0ELb1EPK19rocblas_complex_numIdEPS1_S4_EviT3_lllT4_lllT5_li
	.p2align	8
	.type	_ZL20rocblas_trmvt_kernelILi512ELb1ELb0ELb1EPK19rocblas_complex_numIdEPS1_S4_EviT3_lllT4_lllT5_li,@function
_ZL20rocblas_trmvt_kernelILi512ELb1ELb0ELb1EPK19rocblas_complex_numIdEPS1_S4_EviT3_lllT4_lllT5_li: ; @_ZL20rocblas_trmvt_kernelILi512ELb1ELb0ELb1EPK19rocblas_complex_numIdEPS1_S4_EviT3_lllT4_lllT5_li
; %bb.0:
	s_load_dwordx16 s[8:23], s[4:5], 0x8
	v_mov_b32_e32 v3, 0
	v_mov_b32_e32 v1, 0
	;; [unrolled: 1-line block ×4, first 2 shown]
	v_cmp_eq_u32_e32 vcc_lo, 0, v0
	s_mov_b32 s0, s7
	s_waitcnt lgkmcnt(0)
	s_mul_i32 s1, s23, s7
	s_mul_hi_u32 s3, s22, s7
	s_mul_i32 s2, s22, s7
	s_add_i32 s3, s3, s1
	s_ashr_i32 s7, s6, 31
	s_and_saveexec_b32 s1, vcc_lo
	s_cbranch_execz .LBB43_2
; %bb.1:
	s_lshl_b64 s[22:23], s[2:3], 4
	s_mul_i32 s26, s20, s7
	s_add_u32 s24, s16, s22
	s_addc_u32 s25, s17, s23
	s_lshl_b64 s[22:23], s[18:19], 4
	s_add_u32 s24, s24, s22
	s_mul_hi_u32 s22, s20, s6
	s_addc_u32 s25, s25, s23
	s_add_i32 s22, s22, s26
	s_mul_i32 s23, s21, s6
	s_add_i32 s23, s22, s23
	s_mul_i32 s22, s20, s6
	s_lshl_b64 s[22:23], s[22:23], 4
	s_add_u32 s22, s24, s22
	s_addc_u32 s23, s25, s23
	s_load_dwordx4 s[24:27], s[22:23], 0x0
	s_waitcnt lgkmcnt(0)
	v_add_f64 v[3:4], s[24:25], 0
	v_add_f64 v[1:2], s[26:27], 0
.LBB43_2:
	s_or_b32 exec_lo, exec_lo, s1
	s_load_dword s23, s[4:5], 0x0
	s_waitcnt lgkmcnt(0)
	v_cmp_gt_i32_e64 s1, s23, v0
	s_and_saveexec_b32 s22, s1
	s_cbranch_execz .LBB43_8
; %bb.3:
	v_mad_u64_u32 v[5:6], null, s20, v0, 0
	s_lshl_b64 s[18:19], s[18:19], 4
	s_lshl_b64 s[2:3], s[2:3], 4
	s_add_u32 s16, s16, s18
	v_cndmask_b32_e64 v8, 0, v0, s1
	s_mul_i32 s1, s12, s7
	s_mul_hi_u32 s24, s12, s6
	v_mad_u64_u32 v[6:7], null, s21, v0, v[6:7]
	s_addc_u32 s17, s17, s19
	s_add_u32 s16, s16, s2
	s_mul_i32 s13, s13, s6
	s_mul_i32 s15, s15, s0
	s_mul_hi_u32 s25, s14, s0
	s_addc_u32 s17, s17, s3
	s_add_i32 s1, s24, s1
	v_lshlrev_b64 v[5:6], 4, v[5:6]
	s_mul_i32 s12, s12, s6
	s_mul_i32 s14, s14, s0
	s_add_i32 s15, s25, s15
	s_add_i32 s13, s1, s13
	s_lshl_b64 s[2:3], s[14:15], 4
	s_lshl_b64 s[14:15], s[12:13], 4
	;; [unrolled: 1-line block ×3, first 2 shown]
	s_add_u32 s14, s14, s2
	s_addc_u32 s15, s15, s3
	s_lshl_b64 s[2:3], s[10:11], 4
	v_add_co_u32 v5, s1, s16, v5
	v_lshlrev_b32_e32 v7, 4, v8
	v_add_co_ci_u32_e64 v6, null, s17, v6, s1
	s_add_u32 s1, s14, s2
	s_addc_u32 s2, s15, s3
	s_add_u32 s1, s8, s1
	s_addc_u32 s2, s9, s2
	v_add_co_u32 v7, s1, s1, v7
	v_add_co_ci_u32_e64 v8, null, s2, 0, s1
	v_add_co_u32 v5, s1, v5, 8
	v_add_co_ci_u32_e64 v6, null, 0, v6, s1
	v_add_co_u32 v7, s1, v7, 8
	v_add_co_ci_u32_e64 v8, null, 0, v8, s1
	v_mov_b32_e32 v9, v0
	s_mov_b32 s3, 0
	s_inst_prefetch 0x1
	s_branch .LBB43_5
	.p2align	6
.LBB43_4:                               ;   in Loop: Header=BB43_5 Depth=1
	s_or_b32 exec_lo, exec_lo, s2
	v_add_nc_u32_e32 v9, 0x200, v9
	v_add_co_u32 v5, s1, v5, s12
	v_add_co_ci_u32_e64 v6, null, s13, v6, s1
	v_cmp_le_i32_e64 s1, s23, v9
	v_add_co_u32 v7, s2, 0x2000, v7
	v_add_co_ci_u32_e64 v8, null, 0, v8, s2
	s_or_b32 s3, s1, s3
	s_andn2_b32 exec_lo, exec_lo, s3
	s_cbranch_execz .LBB43_7
.LBB43_5:                               ; =>This Inner Loop Header: Depth=1
	s_mov_b32 s2, exec_lo
	v_cmpx_lt_i32_e64 s6, v9
	s_cbranch_execz .LBB43_4
; %bb.6:                                ;   in Loop: Header=BB43_5 Depth=1
	global_load_dwordx4 v[10:13], v[7:8], off offset:-8
	global_load_dwordx4 v[14:17], v[5:6], off offset:-8
	s_waitcnt vmcnt(0)
	v_mul_f64 v[18:19], v[12:13], v[16:17]
	v_mul_f64 v[16:17], v[10:11], v[16:17]
	v_fma_f64 v[10:11], v[10:11], v[14:15], -v[18:19]
	v_fma_f64 v[12:13], v[12:13], v[14:15], v[16:17]
	v_add_f64 v[3:4], v[3:4], v[10:11]
	v_add_f64 v[1:2], v[1:2], v[12:13]
	s_branch .LBB43_4
.LBB43_7:
	s_inst_prefetch 0x2
	s_or_b32 exec_lo, exec_lo, s3
.LBB43_8:
	s_or_b32 exec_lo, exec_lo, s22
	v_and_b32_e32 v14, 31, v0
	v_cmp_gt_u32_e64 s1, 32, v0
	v_lshlrev_b32_e32 v9, 4, v14
	s_and_saveexec_b32 s2, s1
	s_cbranch_execz .LBB43_10
; %bb.9:
	v_mov_b32_e32 v5, 0
	v_mov_b32_e32 v6, v5
	v_mov_b32_e32 v7, v5
	v_mov_b32_e32 v8, v5
	ds_write_b128 v9, v[5:8]
.LBB43_10:
	s_or_b32 exec_lo, exec_lo, s2
	v_mbcnt_lo_u32_b32 v13, -1, 0
	s_mov_b32 s3, exec_lo
	s_waitcnt lgkmcnt(0)
	s_barrier
	buffer_gl0_inv
	v_lshl_or_b32 v8, v13, 2, 64
	v_cmp_gt_u32_e64 s2, 24, v13
	ds_bpermute_b32 v5, v8, v3
	ds_bpermute_b32 v6, v8, v4
	;; [unrolled: 1-line block ×4, first 2 shown]
	s_waitcnt lgkmcnt(2)
	v_add_f64 v[3:4], v[3:4], v[5:6]
	v_cndmask_b32_e64 v5, 0, 8, s2
	s_waitcnt lgkmcnt(0)
	v_add_f64 v[1:2], v[1:2], v[7:8]
	v_cmp_gt_u32_e64 s2, 28, v13
	v_add_lshl_u32 v10, v5, v13, 2
	ds_bpermute_b32 v5, v10, v3
	ds_bpermute_b32 v6, v10, v4
	;; [unrolled: 1-line block ×4, first 2 shown]
	s_waitcnt lgkmcnt(2)
	v_add_f64 v[3:4], v[3:4], v[5:6]
	v_cndmask_b32_e64 v5, 0, 4, s2
	s_waitcnt lgkmcnt(0)
	v_add_f64 v[1:2], v[1:2], v[7:8]
	v_cmp_gt_u32_e64 s2, 30, v13
	v_add_lshl_u32 v11, v5, v13, 2
	ds_bpermute_b32 v5, v11, v3
	ds_bpermute_b32 v6, v11, v4
	ds_bpermute_b32 v7, v11, v1
	ds_bpermute_b32 v8, v11, v2
	s_waitcnt lgkmcnt(2)
	v_add_f64 v[3:4], v[3:4], v[5:6]
	s_waitcnt lgkmcnt(0)
	v_add_f64 v[5:6], v[1:2], v[7:8]
	v_cndmask_b32_e64 v1, 0, 2, s2
	v_cmp_ne_u32_e64 s2, 31, v13
	v_add_lshl_u32 v12, v1, v13, 2
	ds_bpermute_b32 v1, v12, v3
	ds_bpermute_b32 v2, v12, v4
	;; [unrolled: 1-line block ×4, first 2 shown]
	s_waitcnt lgkmcnt(2)
	v_add_f64 v[1:2], v[3:4], v[1:2]
	s_waitcnt lgkmcnt(0)
	v_add_f64 v[3:4], v[5:6], v[7:8]
	v_add_co_ci_u32_e64 v5, null, 0, v13, s2
	v_lshlrev_b32_e32 v13, 2, v5
	ds_bpermute_b32 v5, v13, v1
	ds_bpermute_b32 v6, v13, v2
	;; [unrolled: 1-line block ×4, first 2 shown]
	v_cmpx_eq_u32_e32 0, v14
	s_cbranch_execz .LBB43_12
; %bb.11:
	s_waitcnt lgkmcnt(0)
	v_add_f64 v[3:4], v[3:4], v[7:8]
	v_add_f64 v[1:2], v[1:2], v[5:6]
	v_lshrrev_b32_e32 v5, 1, v0
	v_and_b32_e32 v5, 0xf0, v5
	ds_write_b128 v5, v[1:4]
.LBB43_12:
	s_or_b32 exec_lo, exec_lo, s3
	v_mov_b32_e32 v3, 0
	v_mov_b32_e32 v1, 0
	;; [unrolled: 1-line block ×4, first 2 shown]
	s_mov_b32 s3, exec_lo
	s_waitcnt lgkmcnt(0)
	s_barrier
	buffer_gl0_inv
	v_cmpx_gt_u32_e32 16, v0
	s_cbranch_execnz .LBB43_16
; %bb.13:
	s_or_b32 exec_lo, exec_lo, s3
	s_and_saveexec_b32 s2, s1
	s_cbranch_execnz .LBB43_17
.LBB43_14:
	s_or_b32 exec_lo, exec_lo, s2
	s_and_saveexec_b32 s1, vcc_lo
	s_cbranch_execnz .LBB43_18
.LBB43_15:
	s_endpgm
.LBB43_16:
	ds_read_b128 v[1:4], v9
	s_or_b32 exec_lo, exec_lo, s3
	s_and_saveexec_b32 s2, s1
	s_cbranch_execz .LBB43_14
.LBB43_17:
	s_waitcnt lgkmcnt(0)
	ds_bpermute_b32 v5, v10, v1
	ds_bpermute_b32 v6, v10, v2
	ds_bpermute_b32 v7, v10, v3
	ds_bpermute_b32 v8, v10, v4
	s_waitcnt lgkmcnt(2)
	v_add_f64 v[0:1], v[1:2], v[5:6]
	s_waitcnt lgkmcnt(0)
	v_add_f64 v[2:3], v[3:4], v[7:8]
	ds_bpermute_b32 v4, v11, v0
	ds_bpermute_b32 v5, v11, v1
	ds_bpermute_b32 v6, v11, v2
	ds_bpermute_b32 v7, v11, v3
	s_waitcnt lgkmcnt(2)
	v_add_f64 v[0:1], v[0:1], v[4:5]
	s_waitcnt lgkmcnt(0)
	v_add_f64 v[2:3], v[2:3], v[6:7]
	;; [unrolled: 8-line block ×4, first 2 shown]
	s_or_b32 exec_lo, exec_lo, s2
	s_and_saveexec_b32 s1, vcc_lo
	s_cbranch_execz .LBB43_15
.LBB43_18:
	s_load_dwordx4 s[8:11], s[4:5], 0x48
	v_mov_b32_e32 v0, 0
	s_waitcnt lgkmcnt(0)
	s_mul_i32 s1, s11, s0
	s_mul_hi_u32 s2, s10, s0
	s_mul_i32 s0, s10, s0
	s_add_i32 s1, s2, s1
	s_lshl_b64 s[0:1], s[0:1], 4
	s_add_u32 s2, s8, s0
	s_addc_u32 s3, s9, s1
	s_lshl_b64 s[0:1], s[6:7], 4
	s_add_u32 s0, s2, s0
	s_addc_u32 s1, s3, s1
	global_store_dwordx4 v0, v[1:4], s[0:1]
	s_endpgm
	.section	.rodata,"a",@progbits
	.p2align	6, 0x0
	.amdhsa_kernel _ZL20rocblas_trmvt_kernelILi512ELb1ELb0ELb1EPK19rocblas_complex_numIdEPS1_S4_EviT3_lllT4_lllT5_li
		.amdhsa_group_segment_fixed_size 512
		.amdhsa_private_segment_fixed_size 0
		.amdhsa_kernarg_size 92
		.amdhsa_user_sgpr_count 6
		.amdhsa_user_sgpr_private_segment_buffer 1
		.amdhsa_user_sgpr_dispatch_ptr 0
		.amdhsa_user_sgpr_queue_ptr 0
		.amdhsa_user_sgpr_kernarg_segment_ptr 1
		.amdhsa_user_sgpr_dispatch_id 0
		.amdhsa_user_sgpr_flat_scratch_init 0
		.amdhsa_user_sgpr_private_segment_size 0
		.amdhsa_wavefront_size32 1
		.amdhsa_uses_dynamic_stack 0
		.amdhsa_system_sgpr_private_segment_wavefront_offset 0
		.amdhsa_system_sgpr_workgroup_id_x 1
		.amdhsa_system_sgpr_workgroup_id_y 0
		.amdhsa_system_sgpr_workgroup_id_z 1
		.amdhsa_system_sgpr_workgroup_info 0
		.amdhsa_system_vgpr_workitem_id 0
		.amdhsa_next_free_vgpr 20
		.amdhsa_next_free_sgpr 28
		.amdhsa_reserve_vcc 1
		.amdhsa_reserve_flat_scratch 0
		.amdhsa_float_round_mode_32 0
		.amdhsa_float_round_mode_16_64 0
		.amdhsa_float_denorm_mode_32 3
		.amdhsa_float_denorm_mode_16_64 3
		.amdhsa_dx10_clamp 1
		.amdhsa_ieee_mode 1
		.amdhsa_fp16_overflow 0
		.amdhsa_workgroup_processor_mode 1
		.amdhsa_memory_ordered 1
		.amdhsa_forward_progress 1
		.amdhsa_shared_vgpr_count 0
		.amdhsa_exception_fp_ieee_invalid_op 0
		.amdhsa_exception_fp_denorm_src 0
		.amdhsa_exception_fp_ieee_div_zero 0
		.amdhsa_exception_fp_ieee_overflow 0
		.amdhsa_exception_fp_ieee_underflow 0
		.amdhsa_exception_fp_ieee_inexact 0
		.amdhsa_exception_int_div_zero 0
	.end_amdhsa_kernel
	.section	.text._ZL20rocblas_trmvt_kernelILi512ELb1ELb0ELb1EPK19rocblas_complex_numIdEPS1_S4_EviT3_lllT4_lllT5_li,"axG",@progbits,_ZL20rocblas_trmvt_kernelILi512ELb1ELb0ELb1EPK19rocblas_complex_numIdEPS1_S4_EviT3_lllT4_lllT5_li,comdat
.Lfunc_end43:
	.size	_ZL20rocblas_trmvt_kernelILi512ELb1ELb0ELb1EPK19rocblas_complex_numIdEPS1_S4_EviT3_lllT4_lllT5_li, .Lfunc_end43-_ZL20rocblas_trmvt_kernelILi512ELb1ELb0ELb1EPK19rocblas_complex_numIdEPS1_S4_EviT3_lllT4_lllT5_li
                                        ; -- End function
	.set _ZL20rocblas_trmvt_kernelILi512ELb1ELb0ELb1EPK19rocblas_complex_numIdEPS1_S4_EviT3_lllT4_lllT5_li.num_vgpr, 20
	.set _ZL20rocblas_trmvt_kernelILi512ELb1ELb0ELb1EPK19rocblas_complex_numIdEPS1_S4_EviT3_lllT4_lllT5_li.num_agpr, 0
	.set _ZL20rocblas_trmvt_kernelILi512ELb1ELb0ELb1EPK19rocblas_complex_numIdEPS1_S4_EviT3_lllT4_lllT5_li.numbered_sgpr, 28
	.set _ZL20rocblas_trmvt_kernelILi512ELb1ELb0ELb1EPK19rocblas_complex_numIdEPS1_S4_EviT3_lllT4_lllT5_li.num_named_barrier, 0
	.set _ZL20rocblas_trmvt_kernelILi512ELb1ELb0ELb1EPK19rocblas_complex_numIdEPS1_S4_EviT3_lllT4_lllT5_li.private_seg_size, 0
	.set _ZL20rocblas_trmvt_kernelILi512ELb1ELb0ELb1EPK19rocblas_complex_numIdEPS1_S4_EviT3_lllT4_lllT5_li.uses_vcc, 1
	.set _ZL20rocblas_trmvt_kernelILi512ELb1ELb0ELb1EPK19rocblas_complex_numIdEPS1_S4_EviT3_lllT4_lllT5_li.uses_flat_scratch, 0
	.set _ZL20rocblas_trmvt_kernelILi512ELb1ELb0ELb1EPK19rocblas_complex_numIdEPS1_S4_EviT3_lllT4_lllT5_li.has_dyn_sized_stack, 0
	.set _ZL20rocblas_trmvt_kernelILi512ELb1ELb0ELb1EPK19rocblas_complex_numIdEPS1_S4_EviT3_lllT4_lllT5_li.has_recursion, 0
	.set _ZL20rocblas_trmvt_kernelILi512ELb1ELb0ELb1EPK19rocblas_complex_numIdEPS1_S4_EviT3_lllT4_lllT5_li.has_indirect_call, 0
	.section	.AMDGPU.csdata,"",@progbits
; Kernel info:
; codeLenInByte = 1504
; TotalNumSgprs: 30
; NumVgprs: 20
; ScratchSize: 0
; MemoryBound: 0
; FloatMode: 240
; IeeeMode: 1
; LDSByteSize: 512 bytes/workgroup (compile time only)
; SGPRBlocks: 0
; VGPRBlocks: 2
; NumSGPRsForWavesPerEU: 30
; NumVGPRsForWavesPerEU: 20
; Occupancy: 16
; WaveLimiterHint : 0
; COMPUTE_PGM_RSRC2:SCRATCH_EN: 0
; COMPUTE_PGM_RSRC2:USER_SGPR: 6
; COMPUTE_PGM_RSRC2:TRAP_HANDLER: 0
; COMPUTE_PGM_RSRC2:TGID_X_EN: 1
; COMPUTE_PGM_RSRC2:TGID_Y_EN: 0
; COMPUTE_PGM_RSRC2:TGID_Z_EN: 1
; COMPUTE_PGM_RSRC2:TIDIG_COMP_CNT: 0
	.section	.text._ZL20rocblas_trmvt_kernelILi512ELb1ELb1ELb1EPK19rocblas_complex_numIdEPS1_S4_EviT3_lllT4_lllT5_li,"axG",@progbits,_ZL20rocblas_trmvt_kernelILi512ELb1ELb1ELb1EPK19rocblas_complex_numIdEPS1_S4_EviT3_lllT4_lllT5_li,comdat
	.globl	_ZL20rocblas_trmvt_kernelILi512ELb1ELb1ELb1EPK19rocblas_complex_numIdEPS1_S4_EviT3_lllT4_lllT5_li ; -- Begin function _ZL20rocblas_trmvt_kernelILi512ELb1ELb1ELb1EPK19rocblas_complex_numIdEPS1_S4_EviT3_lllT4_lllT5_li
	.p2align	8
	.type	_ZL20rocblas_trmvt_kernelILi512ELb1ELb1ELb1EPK19rocblas_complex_numIdEPS1_S4_EviT3_lllT4_lllT5_li,@function
_ZL20rocblas_trmvt_kernelILi512ELb1ELb1ELb1EPK19rocblas_complex_numIdEPS1_S4_EviT3_lllT4_lllT5_li: ; @_ZL20rocblas_trmvt_kernelILi512ELb1ELb1ELb1EPK19rocblas_complex_numIdEPS1_S4_EviT3_lllT4_lllT5_li
; %bb.0:
	s_load_dwordx16 s[8:23], s[4:5], 0x8
	v_mov_b32_e32 v3, 0
	v_mov_b32_e32 v1, 0
	;; [unrolled: 1-line block ×4, first 2 shown]
	v_cmp_eq_u32_e32 vcc_lo, 0, v0
	s_mov_b32 s0, s7
	s_waitcnt lgkmcnt(0)
	s_mul_i32 s1, s23, s7
	s_mul_hi_u32 s3, s22, s7
	s_mul_i32 s2, s22, s7
	s_add_i32 s3, s3, s1
	s_ashr_i32 s7, s6, 31
	s_and_saveexec_b32 s1, vcc_lo
	s_cbranch_execz .LBB44_2
; %bb.1:
	s_lshl_b64 s[22:23], s[2:3], 4
	s_mul_i32 s26, s20, s7
	s_add_u32 s24, s16, s22
	s_addc_u32 s25, s17, s23
	s_lshl_b64 s[22:23], s[18:19], 4
	s_add_u32 s24, s24, s22
	s_mul_hi_u32 s22, s20, s6
	s_addc_u32 s25, s25, s23
	s_add_i32 s22, s22, s26
	s_mul_i32 s23, s21, s6
	s_add_i32 s23, s22, s23
	s_mul_i32 s22, s20, s6
	s_lshl_b64 s[22:23], s[22:23], 4
	s_add_u32 s22, s24, s22
	s_addc_u32 s23, s25, s23
	s_load_dwordx4 s[24:27], s[22:23], 0x0
	s_waitcnt lgkmcnt(0)
	v_add_f64 v[3:4], s[24:25], 0
	v_add_f64 v[1:2], s[26:27], 0
.LBB44_2:
	s_or_b32 exec_lo, exec_lo, s1
	s_load_dword s23, s[4:5], 0x0
	s_waitcnt lgkmcnt(0)
	v_cmp_gt_i32_e64 s1, s23, v0
	s_and_saveexec_b32 s22, s1
	s_cbranch_execz .LBB44_8
; %bb.3:
	v_mad_u64_u32 v[5:6], null, s20, v0, 0
	s_lshl_b64 s[18:19], s[18:19], 4
	s_lshl_b64 s[2:3], s[2:3], 4
	s_add_u32 s16, s16, s18
	v_cndmask_b32_e64 v8, 0, v0, s1
	s_mul_i32 s1, s12, s7
	s_mul_hi_u32 s24, s12, s6
	v_mad_u64_u32 v[6:7], null, s21, v0, v[6:7]
	s_addc_u32 s17, s17, s19
	s_add_u32 s16, s16, s2
	s_mul_i32 s13, s13, s6
	s_mul_i32 s15, s15, s0
	s_mul_hi_u32 s25, s14, s0
	s_addc_u32 s17, s17, s3
	s_add_i32 s1, s24, s1
	v_lshlrev_b64 v[5:6], 4, v[5:6]
	s_mul_i32 s12, s12, s6
	s_mul_i32 s14, s14, s0
	s_add_i32 s15, s25, s15
	s_add_i32 s13, s1, s13
	s_lshl_b64 s[2:3], s[14:15], 4
	s_lshl_b64 s[14:15], s[12:13], 4
	;; [unrolled: 1-line block ×3, first 2 shown]
	s_add_u32 s14, s14, s2
	s_addc_u32 s15, s15, s3
	s_lshl_b64 s[2:3], s[10:11], 4
	v_add_co_u32 v5, s1, s16, v5
	v_lshlrev_b32_e32 v7, 4, v8
	v_add_co_ci_u32_e64 v6, null, s17, v6, s1
	s_add_u32 s1, s14, s2
	s_addc_u32 s2, s15, s3
	s_add_u32 s1, s8, s1
	s_addc_u32 s2, s9, s2
	v_add_co_u32 v7, s1, s1, v7
	v_add_co_ci_u32_e64 v8, null, s2, 0, s1
	v_add_co_u32 v5, s1, v5, 8
	v_add_co_ci_u32_e64 v6, null, 0, v6, s1
	;; [unrolled: 2-line block ×3, first 2 shown]
	v_mov_b32_e32 v9, v0
	s_mov_b32 s3, 0
	s_inst_prefetch 0x1
	s_branch .LBB44_5
	.p2align	6
.LBB44_4:                               ;   in Loop: Header=BB44_5 Depth=1
	s_or_b32 exec_lo, exec_lo, s2
	v_add_nc_u32_e32 v9, 0x200, v9
	v_add_co_u32 v5, s1, v5, s12
	v_add_co_ci_u32_e64 v6, null, s13, v6, s1
	v_cmp_le_i32_e64 s1, s23, v9
	v_add_co_u32 v7, s2, 0x2000, v7
	v_add_co_ci_u32_e64 v8, null, 0, v8, s2
	s_or_b32 s3, s1, s3
	s_andn2_b32 exec_lo, exec_lo, s3
	s_cbranch_execz .LBB44_7
.LBB44_5:                               ; =>This Inner Loop Header: Depth=1
	s_mov_b32 s2, exec_lo
	v_cmpx_lt_i32_e64 s6, v9
	s_cbranch_execz .LBB44_4
; %bb.6:                                ;   in Loop: Header=BB44_5 Depth=1
	global_load_dwordx4 v[10:13], v[7:8], off offset:-8
	global_load_dwordx4 v[14:17], v[5:6], off offset:-8
	s_waitcnt vmcnt(0)
	v_mul_f64 v[18:19], v[12:13], v[16:17]
	v_mul_f64 v[12:13], v[12:13], v[14:15]
	v_fma_f64 v[14:15], v[10:11], v[14:15], v[18:19]
	v_fma_f64 v[10:11], v[10:11], v[16:17], -v[12:13]
	v_add_f64 v[3:4], v[3:4], v[14:15]
	v_add_f64 v[1:2], v[1:2], v[10:11]
	s_branch .LBB44_4
.LBB44_7:
	s_inst_prefetch 0x2
	s_or_b32 exec_lo, exec_lo, s3
.LBB44_8:
	s_or_b32 exec_lo, exec_lo, s22
	v_and_b32_e32 v14, 31, v0
	v_cmp_gt_u32_e64 s1, 32, v0
	v_lshlrev_b32_e32 v9, 4, v14
	s_and_saveexec_b32 s2, s1
	s_cbranch_execz .LBB44_10
; %bb.9:
	v_mov_b32_e32 v5, 0
	v_mov_b32_e32 v6, v5
	v_mov_b32_e32 v7, v5
	v_mov_b32_e32 v8, v5
	ds_write_b128 v9, v[5:8]
.LBB44_10:
	s_or_b32 exec_lo, exec_lo, s2
	v_mbcnt_lo_u32_b32 v13, -1, 0
	s_mov_b32 s3, exec_lo
	s_waitcnt lgkmcnt(0)
	s_barrier
	buffer_gl0_inv
	v_lshl_or_b32 v8, v13, 2, 64
	v_cmp_gt_u32_e64 s2, 24, v13
	ds_bpermute_b32 v5, v8, v3
	ds_bpermute_b32 v6, v8, v4
	ds_bpermute_b32 v7, v8, v1
	ds_bpermute_b32 v8, v8, v2
	s_waitcnt lgkmcnt(2)
	v_add_f64 v[3:4], v[3:4], v[5:6]
	v_cndmask_b32_e64 v5, 0, 8, s2
	s_waitcnt lgkmcnt(0)
	v_add_f64 v[1:2], v[1:2], v[7:8]
	v_cmp_gt_u32_e64 s2, 28, v13
	v_add_lshl_u32 v10, v5, v13, 2
	ds_bpermute_b32 v5, v10, v3
	ds_bpermute_b32 v6, v10, v4
	ds_bpermute_b32 v7, v10, v1
	ds_bpermute_b32 v8, v10, v2
	s_waitcnt lgkmcnt(2)
	v_add_f64 v[3:4], v[3:4], v[5:6]
	v_cndmask_b32_e64 v5, 0, 4, s2
	s_waitcnt lgkmcnt(0)
	v_add_f64 v[1:2], v[1:2], v[7:8]
	v_cmp_gt_u32_e64 s2, 30, v13
	v_add_lshl_u32 v11, v5, v13, 2
	ds_bpermute_b32 v5, v11, v3
	ds_bpermute_b32 v6, v11, v4
	;; [unrolled: 1-line block ×4, first 2 shown]
	s_waitcnt lgkmcnt(2)
	v_add_f64 v[3:4], v[3:4], v[5:6]
	s_waitcnt lgkmcnt(0)
	v_add_f64 v[5:6], v[1:2], v[7:8]
	v_cndmask_b32_e64 v1, 0, 2, s2
	v_cmp_ne_u32_e64 s2, 31, v13
	v_add_lshl_u32 v12, v1, v13, 2
	ds_bpermute_b32 v1, v12, v3
	ds_bpermute_b32 v2, v12, v4
	;; [unrolled: 1-line block ×4, first 2 shown]
	s_waitcnt lgkmcnt(2)
	v_add_f64 v[1:2], v[3:4], v[1:2]
	s_waitcnt lgkmcnt(0)
	v_add_f64 v[3:4], v[5:6], v[7:8]
	v_add_co_ci_u32_e64 v5, null, 0, v13, s2
	v_lshlrev_b32_e32 v13, 2, v5
	ds_bpermute_b32 v5, v13, v1
	ds_bpermute_b32 v6, v13, v2
	;; [unrolled: 1-line block ×4, first 2 shown]
	v_cmpx_eq_u32_e32 0, v14
	s_cbranch_execz .LBB44_12
; %bb.11:
	s_waitcnt lgkmcnt(0)
	v_add_f64 v[3:4], v[3:4], v[7:8]
	v_add_f64 v[1:2], v[1:2], v[5:6]
	v_lshrrev_b32_e32 v5, 1, v0
	v_and_b32_e32 v5, 0xf0, v5
	ds_write_b128 v5, v[1:4]
.LBB44_12:
	s_or_b32 exec_lo, exec_lo, s3
	v_mov_b32_e32 v3, 0
	v_mov_b32_e32 v1, 0
	;; [unrolled: 1-line block ×4, first 2 shown]
	s_mov_b32 s3, exec_lo
	s_waitcnt lgkmcnt(0)
	s_barrier
	buffer_gl0_inv
	v_cmpx_gt_u32_e32 16, v0
	s_cbranch_execnz .LBB44_16
; %bb.13:
	s_or_b32 exec_lo, exec_lo, s3
	s_and_saveexec_b32 s2, s1
	s_cbranch_execnz .LBB44_17
.LBB44_14:
	s_or_b32 exec_lo, exec_lo, s2
	s_and_saveexec_b32 s1, vcc_lo
	s_cbranch_execnz .LBB44_18
.LBB44_15:
	s_endpgm
.LBB44_16:
	ds_read_b128 v[1:4], v9
	s_or_b32 exec_lo, exec_lo, s3
	s_and_saveexec_b32 s2, s1
	s_cbranch_execz .LBB44_14
.LBB44_17:
	s_waitcnt lgkmcnt(0)
	ds_bpermute_b32 v5, v10, v1
	ds_bpermute_b32 v6, v10, v2
	ds_bpermute_b32 v7, v10, v3
	ds_bpermute_b32 v8, v10, v4
	s_waitcnt lgkmcnt(2)
	v_add_f64 v[0:1], v[1:2], v[5:6]
	s_waitcnt lgkmcnt(0)
	v_add_f64 v[2:3], v[3:4], v[7:8]
	ds_bpermute_b32 v4, v11, v0
	ds_bpermute_b32 v5, v11, v1
	ds_bpermute_b32 v6, v11, v2
	ds_bpermute_b32 v7, v11, v3
	s_waitcnt lgkmcnt(2)
	v_add_f64 v[0:1], v[0:1], v[4:5]
	s_waitcnt lgkmcnt(0)
	v_add_f64 v[2:3], v[2:3], v[6:7]
	;; [unrolled: 8-line block ×4, first 2 shown]
	s_or_b32 exec_lo, exec_lo, s2
	s_and_saveexec_b32 s1, vcc_lo
	s_cbranch_execz .LBB44_15
.LBB44_18:
	s_load_dwordx4 s[8:11], s[4:5], 0x48
	v_mov_b32_e32 v0, 0
	s_waitcnt lgkmcnt(0)
	s_mul_i32 s1, s11, s0
	s_mul_hi_u32 s2, s10, s0
	s_mul_i32 s0, s10, s0
	s_add_i32 s1, s2, s1
	s_lshl_b64 s[0:1], s[0:1], 4
	s_add_u32 s2, s8, s0
	s_addc_u32 s3, s9, s1
	s_lshl_b64 s[0:1], s[6:7], 4
	s_add_u32 s0, s2, s0
	s_addc_u32 s1, s3, s1
	global_store_dwordx4 v0, v[1:4], s[0:1]
	s_endpgm
	.section	.rodata,"a",@progbits
	.p2align	6, 0x0
	.amdhsa_kernel _ZL20rocblas_trmvt_kernelILi512ELb1ELb1ELb1EPK19rocblas_complex_numIdEPS1_S4_EviT3_lllT4_lllT5_li
		.amdhsa_group_segment_fixed_size 512
		.amdhsa_private_segment_fixed_size 0
		.amdhsa_kernarg_size 92
		.amdhsa_user_sgpr_count 6
		.amdhsa_user_sgpr_private_segment_buffer 1
		.amdhsa_user_sgpr_dispatch_ptr 0
		.amdhsa_user_sgpr_queue_ptr 0
		.amdhsa_user_sgpr_kernarg_segment_ptr 1
		.amdhsa_user_sgpr_dispatch_id 0
		.amdhsa_user_sgpr_flat_scratch_init 0
		.amdhsa_user_sgpr_private_segment_size 0
		.amdhsa_wavefront_size32 1
		.amdhsa_uses_dynamic_stack 0
		.amdhsa_system_sgpr_private_segment_wavefront_offset 0
		.amdhsa_system_sgpr_workgroup_id_x 1
		.amdhsa_system_sgpr_workgroup_id_y 0
		.amdhsa_system_sgpr_workgroup_id_z 1
		.amdhsa_system_sgpr_workgroup_info 0
		.amdhsa_system_vgpr_workitem_id 0
		.amdhsa_next_free_vgpr 20
		.amdhsa_next_free_sgpr 28
		.amdhsa_reserve_vcc 1
		.amdhsa_reserve_flat_scratch 0
		.amdhsa_float_round_mode_32 0
		.amdhsa_float_round_mode_16_64 0
		.amdhsa_float_denorm_mode_32 3
		.amdhsa_float_denorm_mode_16_64 3
		.amdhsa_dx10_clamp 1
		.amdhsa_ieee_mode 1
		.amdhsa_fp16_overflow 0
		.amdhsa_workgroup_processor_mode 1
		.amdhsa_memory_ordered 1
		.amdhsa_forward_progress 1
		.amdhsa_shared_vgpr_count 0
		.amdhsa_exception_fp_ieee_invalid_op 0
		.amdhsa_exception_fp_denorm_src 0
		.amdhsa_exception_fp_ieee_div_zero 0
		.amdhsa_exception_fp_ieee_overflow 0
		.amdhsa_exception_fp_ieee_underflow 0
		.amdhsa_exception_fp_ieee_inexact 0
		.amdhsa_exception_int_div_zero 0
	.end_amdhsa_kernel
	.section	.text._ZL20rocblas_trmvt_kernelILi512ELb1ELb1ELb1EPK19rocblas_complex_numIdEPS1_S4_EviT3_lllT4_lllT5_li,"axG",@progbits,_ZL20rocblas_trmvt_kernelILi512ELb1ELb1ELb1EPK19rocblas_complex_numIdEPS1_S4_EviT3_lllT4_lllT5_li,comdat
.Lfunc_end44:
	.size	_ZL20rocblas_trmvt_kernelILi512ELb1ELb1ELb1EPK19rocblas_complex_numIdEPS1_S4_EviT3_lllT4_lllT5_li, .Lfunc_end44-_ZL20rocblas_trmvt_kernelILi512ELb1ELb1ELb1EPK19rocblas_complex_numIdEPS1_S4_EviT3_lllT4_lllT5_li
                                        ; -- End function
	.set _ZL20rocblas_trmvt_kernelILi512ELb1ELb1ELb1EPK19rocblas_complex_numIdEPS1_S4_EviT3_lllT4_lllT5_li.num_vgpr, 20
	.set _ZL20rocblas_trmvt_kernelILi512ELb1ELb1ELb1EPK19rocblas_complex_numIdEPS1_S4_EviT3_lllT4_lllT5_li.num_agpr, 0
	.set _ZL20rocblas_trmvt_kernelILi512ELb1ELb1ELb1EPK19rocblas_complex_numIdEPS1_S4_EviT3_lllT4_lllT5_li.numbered_sgpr, 28
	.set _ZL20rocblas_trmvt_kernelILi512ELb1ELb1ELb1EPK19rocblas_complex_numIdEPS1_S4_EviT3_lllT4_lllT5_li.num_named_barrier, 0
	.set _ZL20rocblas_trmvt_kernelILi512ELb1ELb1ELb1EPK19rocblas_complex_numIdEPS1_S4_EviT3_lllT4_lllT5_li.private_seg_size, 0
	.set _ZL20rocblas_trmvt_kernelILi512ELb1ELb1ELb1EPK19rocblas_complex_numIdEPS1_S4_EviT3_lllT4_lllT5_li.uses_vcc, 1
	.set _ZL20rocblas_trmvt_kernelILi512ELb1ELb1ELb1EPK19rocblas_complex_numIdEPS1_S4_EviT3_lllT4_lllT5_li.uses_flat_scratch, 0
	.set _ZL20rocblas_trmvt_kernelILi512ELb1ELb1ELb1EPK19rocblas_complex_numIdEPS1_S4_EviT3_lllT4_lllT5_li.has_dyn_sized_stack, 0
	.set _ZL20rocblas_trmvt_kernelILi512ELb1ELb1ELb1EPK19rocblas_complex_numIdEPS1_S4_EviT3_lllT4_lllT5_li.has_recursion, 0
	.set _ZL20rocblas_trmvt_kernelILi512ELb1ELb1ELb1EPK19rocblas_complex_numIdEPS1_S4_EviT3_lllT4_lllT5_li.has_indirect_call, 0
	.section	.AMDGPU.csdata,"",@progbits
; Kernel info:
; codeLenInByte = 1504
; TotalNumSgprs: 30
; NumVgprs: 20
; ScratchSize: 0
; MemoryBound: 0
; FloatMode: 240
; IeeeMode: 1
; LDSByteSize: 512 bytes/workgroup (compile time only)
; SGPRBlocks: 0
; VGPRBlocks: 2
; NumSGPRsForWavesPerEU: 30
; NumVGPRsForWavesPerEU: 20
; Occupancy: 16
; WaveLimiterHint : 0
; COMPUTE_PGM_RSRC2:SCRATCH_EN: 0
; COMPUTE_PGM_RSRC2:USER_SGPR: 6
; COMPUTE_PGM_RSRC2:TRAP_HANDLER: 0
; COMPUTE_PGM_RSRC2:TGID_X_EN: 1
; COMPUTE_PGM_RSRC2:TGID_Y_EN: 0
; COMPUTE_PGM_RSRC2:TGID_Z_EN: 1
; COMPUTE_PGM_RSRC2:TIDIG_COMP_CNT: 0
	.section	.text._ZL20rocblas_trmvn_kernelILi64ELi16ELb1ELb0EPK19rocblas_complex_numIdEPS1_S4_EviT3_lllT4_lllT5_li,"axG",@progbits,_ZL20rocblas_trmvn_kernelILi64ELi16ELb1ELb0EPK19rocblas_complex_numIdEPS1_S4_EviT3_lllT4_lllT5_li,comdat
	.globl	_ZL20rocblas_trmvn_kernelILi64ELi16ELb1ELb0EPK19rocblas_complex_numIdEPS1_S4_EviT3_lllT4_lllT5_li ; -- Begin function _ZL20rocblas_trmvn_kernelILi64ELi16ELb1ELb0EPK19rocblas_complex_numIdEPS1_S4_EviT3_lllT4_lllT5_li
	.p2align	8
	.type	_ZL20rocblas_trmvn_kernelILi64ELi16ELb1ELb0EPK19rocblas_complex_numIdEPS1_S4_EviT3_lllT4_lllT5_li,@function
_ZL20rocblas_trmvn_kernelILi64ELi16ELb1ELb0EPK19rocblas_complex_numIdEPS1_S4_EviT3_lllT4_lllT5_li: ; @_ZL20rocblas_trmvn_kernelILi64ELi16ELb1ELb0EPK19rocblas_complex_numIdEPS1_S4_EviT3_lllT4_lllT5_li
; %bb.0:
	s_clause 0x1
	s_load_dwordx16 s[8:23], s[4:5], 0x8
	s_load_dword s24, s[4:5], 0x0
	v_mov_b32_e32 v2, 0
	v_lshl_add_u32 v6, s6, 6, v0
	v_mov_b32_e32 v3, 0
	v_cmp_eq_u32_e64 s0, 0, v1
	v_mov_b32_e32 v5, v3
	v_mov_b32_e32 v4, v2
	s_waitcnt lgkmcnt(0)
	s_mul_i32 s1, s15, s7
	v_cmp_gt_i32_e32 vcc_lo, s24, v6
	s_mul_hi_u32 s3, s14, s7
	s_mul_i32 s2, s14, s7
	s_mul_i32 s6, s23, s7
	s_mul_hi_u32 s14, s22, s7
	s_add_i32 s3, s3, s1
	s_add_i32 s15, s14, s6
	s_mul_i32 s14, s22, s7
	s_and_b32 s0, s0, vcc_lo
	s_and_saveexec_b32 s1, s0
	s_cbranch_execz .LBB45_2
; %bb.1:
	v_ashrrev_i32_e32 v7, 31, v6
	v_mul_lo_u32 v8, s21, v6
	v_mad_u64_u32 v[2:3], null, s20, v6, 0
	v_mul_lo_u32 v10, v6, s13
	v_mul_lo_u32 v9, s20, v7
	;; [unrolled: 1-line block ×3, first 2 shown]
	v_mad_u64_u32 v[4:5], null, v6, s12, v[6:7]
	s_lshl_b64 s[22:23], s[2:3], 4
	s_add_u32 s0, s8, s22
	s_addc_u32 s6, s9, s23
	v_add3_u32 v3, v3, v9, v8
	s_lshl_b64 s[22:23], s[10:11], 4
	v_add3_u32 v5, v11, v5, v10
	s_add_u32 s25, s0, s22
	s_addc_u32 s6, s6, s23
	s_lshl_b64 s[22:23], s[14:15], 4
	v_lshlrev_b64 v[2:3], 4, v[2:3]
	s_add_u32 s0, s16, s22
	s_addc_u32 s26, s17, s23
	s_lshl_b64 s[22:23], s[18:19], 4
	v_lshlrev_b64 v[4:5], 4, v[4:5]
	s_add_u32 s0, s0, s22
	s_addc_u32 s22, s26, s23
	v_add_co_u32 v2, s0, s0, v2
	v_add_co_ci_u32_e64 v3, null, s22, v3, s0
	v_add_co_u32 v7, s0, s25, v4
	v_add_co_ci_u32_e64 v8, null, s6, v5, s0
	global_load_dwordx4 v[2:5], v[2:3], off
	global_load_dwordx4 v[7:10], v[7:8], off
	s_waitcnt vmcnt(0)
	v_mul_f64 v[11:12], v[4:5], v[9:10]
	v_mul_f64 v[9:10], v[2:3], v[9:10]
	v_fma_f64 v[2:3], v[2:3], v[7:8], -v[11:12]
	v_fma_f64 v[4:5], v[4:5], v[7:8], v[9:10]
.LBB45_2:
	s_or_b32 exec_lo, exec_lo, s1
	s_load_dword s6, s[4:5], 0x6c
	s_mov_b32 s22, exec_lo
	v_cmpx_gt_i32_e64 s24, v1
	s_cbranch_execz .LBB45_8
; %bb.3:
	v_mad_u64_u32 v[8:9], null, s12, v1, 0
	v_mad_u64_u32 v[10:11], null, s20, v1, 0
	s_lshl_b64 s[0:1], s[18:19], 4
	s_lshl_b64 s[14:15], s[14:15], 4
	s_add_u32 s0, s16, s0
	v_ashrrev_i32_e32 v7, 31, v6
	s_addc_u32 s1, s17, s1
	s_add_u32 s16, s0, s14
	v_mad_u64_u32 v[12:13], null, s13, v1, v[9:10]
	s_addc_u32 s17, s1, s15
	s_lshl_b64 s[0:1], s[2:3], 4
	s_lshl_b64 s[2:3], s[10:11], 4
	;; [unrolled: 1-line block ×3, first 2 shown]
	s_add_u32 s0, s2, s0
	s_addc_u32 s1, s3, s1
	v_mov_b32_e32 v9, v12
	v_mad_u64_u32 v[11:12], null, s21, v1, v[11:12]
	v_lshlrev_b64 v[12:13], 4, v[6:7]
	s_lshl_b64 s[2:3], s[12:13], 8
	v_lshlrev_b64 v[8:9], 4, v[8:9]
	v_add_co_u32 v14, s0, s0, v8
	v_add_co_ci_u32_e64 v9, null, s1, v9, s0
	v_lshlrev_b64 v[7:8], 4, v[10:11]
	v_add_co_u32 v10, s0, v14, v12
	v_add_co_ci_u32_e64 v9, null, v9, v13, s0
	v_add_co_u32 v7, s0, s16, v7
	v_add_co_ci_u32_e64 v8, null, s17, v8, s0
	;; [unrolled: 2-line block ×5, first 2 shown]
	v_mov_b32_e32 v11, v1
	s_mov_b32 s8, 0
	s_inst_prefetch 0x1
	s_branch .LBB45_5
	.p2align	6
.LBB45_4:                               ;   in Loop: Header=BB45_5 Depth=1
	s_or_b32 exec_lo, exec_lo, s0
	v_add_nc_u32_e32 v11, 16, v11
	v_add_co_u32 v7, s0, v7, s14
	v_add_co_ci_u32_e64 v8, null, s15, v8, s0
	v_cmp_le_i32_e64 s0, s24, v11
	v_add_co_u32 v9, s1, v9, s2
	v_add_co_ci_u32_e64 v10, null, s3, v10, s1
	s_or_b32 s8, s0, s8
	s_andn2_b32 exec_lo, exec_lo, s8
	s_cbranch_execz .LBB45_7
.LBB45_5:                               ; =>This Inner Loop Header: Depth=1
	v_cmp_lt_i32_e64 s0, v11, v6
	s_and_b32 s1, vcc_lo, s0
	s_and_saveexec_b32 s0, s1
	s_cbranch_execz .LBB45_4
; %bb.6:                                ;   in Loop: Header=BB45_5 Depth=1
	global_load_dwordx4 v[12:15], v[7:8], off offset:-8
	global_load_dwordx4 v[16:19], v[9:10], off offset:-8
	s_waitcnt vmcnt(0)
	v_mul_f64 v[20:21], v[14:15], v[18:19]
	v_mul_f64 v[18:19], v[12:13], v[18:19]
	v_fma_f64 v[12:13], v[12:13], v[16:17], -v[20:21]
	v_fma_f64 v[14:15], v[14:15], v[16:17], v[18:19]
	v_add_f64 v[2:3], v[2:3], v[12:13]
	v_add_f64 v[4:5], v[4:5], v[14:15]
	s_branch .LBB45_4
.LBB45_7:
	s_inst_prefetch 0x2
	s_or_b32 exec_lo, exec_lo, s8
.LBB45_8:
	s_or_b32 exec_lo, exec_lo, s22
	v_lshlrev_b32_e32 v7, 4, v0
	s_waitcnt lgkmcnt(0)
	s_and_b32 s1, 0xffff, s6
	s_mov_b32 s2, exec_lo
	v_mad_u32_u24 v0, v1, s1, v0
	v_lshl_add_u32 v8, v1, 10, v7
	ds_write_b128 v8, v[2:5]
	s_waitcnt lgkmcnt(0)
	s_barrier
	buffer_gl0_inv
	v_cmpx_gt_u32_e32 64, v0
	s_cbranch_execz .LBB45_11
; %bb.9:
	v_mul_u32_u24_e32 v0, s1, v1
	v_lshl_add_u32 v0, v0, 4, v7
	ds_read_b128 v[1:4], v0
	ds_read_b128 v[7:10], v0 offset:1024
	s_waitcnt lgkmcnt(0)
	v_add_f64 v[11:12], v[1:2], v[7:8]
	v_add_f64 v[13:14], v[3:4], v[9:10]
	ds_read_b128 v[1:4], v0 offset:2048
	ds_read_b128 v[7:10], v0 offset:3072
	s_waitcnt lgkmcnt(1)
	v_add_f64 v[1:2], v[11:12], v[1:2]
	v_add_f64 v[3:4], v[13:14], v[3:4]
	s_waitcnt lgkmcnt(0)
	v_add_f64 v[11:12], v[1:2], v[7:8]
	v_add_f64 v[13:14], v[3:4], v[9:10]
	ds_read_b128 v[1:4], v0 offset:4096
	ds_read_b128 v[7:10], v0 offset:5120
	s_waitcnt lgkmcnt(1)
	v_add_f64 v[1:2], v[11:12], v[1:2]
	v_add_f64 v[3:4], v[13:14], v[3:4]
	;; [unrolled: 8-line block ×7, first 2 shown]
	s_waitcnt lgkmcnt(0)
	v_add_f64 v[1:2], v[1:2], v[7:8]
	v_add_f64 v[3:4], v[3:4], v[9:10]
	ds_write_b128 v0, v[1:4]
	s_and_b32 exec_lo, exec_lo, vcc_lo
	s_cbranch_execz .LBB45_11
; %bb.10:
	s_load_dwordx4 s[0:3], s[4:5], 0x48
	ds_read2_b64 v[0:3], v0 offset1:1
	v_ashrrev_i32_e32 v7, 31, v6
	v_lshlrev_b64 v[4:5], 4, v[6:7]
	s_waitcnt lgkmcnt(0)
	s_mul_i32 s3, s3, s7
	s_mul_hi_u32 s4, s2, s7
	s_mul_i32 s2, s2, s7
	s_add_i32 s3, s4, s3
	s_lshl_b64 s[2:3], s[2:3], 4
	s_add_u32 s0, s0, s2
	s_addc_u32 s1, s1, s3
	v_add_co_u32 v4, vcc_lo, s0, v4
	v_add_co_ci_u32_e64 v5, null, s1, v5, vcc_lo
	global_store_dwordx4 v[4:5], v[0:3], off
.LBB45_11:
	s_endpgm
	.section	.rodata,"a",@progbits
	.p2align	6, 0x0
	.amdhsa_kernel _ZL20rocblas_trmvn_kernelILi64ELi16ELb1ELb0EPK19rocblas_complex_numIdEPS1_S4_EviT3_lllT4_lllT5_li
		.amdhsa_group_segment_fixed_size 16384
		.amdhsa_private_segment_fixed_size 0
		.amdhsa_kernarg_size 352
		.amdhsa_user_sgpr_count 6
		.amdhsa_user_sgpr_private_segment_buffer 1
		.amdhsa_user_sgpr_dispatch_ptr 0
		.amdhsa_user_sgpr_queue_ptr 0
		.amdhsa_user_sgpr_kernarg_segment_ptr 1
		.amdhsa_user_sgpr_dispatch_id 0
		.amdhsa_user_sgpr_flat_scratch_init 0
		.amdhsa_user_sgpr_private_segment_size 0
		.amdhsa_wavefront_size32 1
		.amdhsa_uses_dynamic_stack 0
		.amdhsa_system_sgpr_private_segment_wavefront_offset 0
		.amdhsa_system_sgpr_workgroup_id_x 1
		.amdhsa_system_sgpr_workgroup_id_y 0
		.amdhsa_system_sgpr_workgroup_id_z 1
		.amdhsa_system_sgpr_workgroup_info 0
		.amdhsa_system_vgpr_workitem_id 1
		.amdhsa_next_free_vgpr 22
		.amdhsa_next_free_sgpr 27
		.amdhsa_reserve_vcc 1
		.amdhsa_reserve_flat_scratch 0
		.amdhsa_float_round_mode_32 0
		.amdhsa_float_round_mode_16_64 0
		.amdhsa_float_denorm_mode_32 3
		.amdhsa_float_denorm_mode_16_64 3
		.amdhsa_dx10_clamp 1
		.amdhsa_ieee_mode 1
		.amdhsa_fp16_overflow 0
		.amdhsa_workgroup_processor_mode 1
		.amdhsa_memory_ordered 1
		.amdhsa_forward_progress 1
		.amdhsa_shared_vgpr_count 0
		.amdhsa_exception_fp_ieee_invalid_op 0
		.amdhsa_exception_fp_denorm_src 0
		.amdhsa_exception_fp_ieee_div_zero 0
		.amdhsa_exception_fp_ieee_overflow 0
		.amdhsa_exception_fp_ieee_underflow 0
		.amdhsa_exception_fp_ieee_inexact 0
		.amdhsa_exception_int_div_zero 0
	.end_amdhsa_kernel
	.section	.text._ZL20rocblas_trmvn_kernelILi64ELi16ELb1ELb0EPK19rocblas_complex_numIdEPS1_S4_EviT3_lllT4_lllT5_li,"axG",@progbits,_ZL20rocblas_trmvn_kernelILi64ELi16ELb1ELb0EPK19rocblas_complex_numIdEPS1_S4_EviT3_lllT4_lllT5_li,comdat
.Lfunc_end45:
	.size	_ZL20rocblas_trmvn_kernelILi64ELi16ELb1ELb0EPK19rocblas_complex_numIdEPS1_S4_EviT3_lllT4_lllT5_li, .Lfunc_end45-_ZL20rocblas_trmvn_kernelILi64ELi16ELb1ELb0EPK19rocblas_complex_numIdEPS1_S4_EviT3_lllT4_lllT5_li
                                        ; -- End function
	.set _ZL20rocblas_trmvn_kernelILi64ELi16ELb1ELb0EPK19rocblas_complex_numIdEPS1_S4_EviT3_lllT4_lllT5_li.num_vgpr, 22
	.set _ZL20rocblas_trmvn_kernelILi64ELi16ELb1ELb0EPK19rocblas_complex_numIdEPS1_S4_EviT3_lllT4_lllT5_li.num_agpr, 0
	.set _ZL20rocblas_trmvn_kernelILi64ELi16ELb1ELb0EPK19rocblas_complex_numIdEPS1_S4_EviT3_lllT4_lllT5_li.numbered_sgpr, 27
	.set _ZL20rocblas_trmvn_kernelILi64ELi16ELb1ELb0EPK19rocblas_complex_numIdEPS1_S4_EviT3_lllT4_lllT5_li.num_named_barrier, 0
	.set _ZL20rocblas_trmvn_kernelILi64ELi16ELb1ELb0EPK19rocblas_complex_numIdEPS1_S4_EviT3_lllT4_lllT5_li.private_seg_size, 0
	.set _ZL20rocblas_trmvn_kernelILi64ELi16ELb1ELb0EPK19rocblas_complex_numIdEPS1_S4_EviT3_lllT4_lllT5_li.uses_vcc, 1
	.set _ZL20rocblas_trmvn_kernelILi64ELi16ELb1ELb0EPK19rocblas_complex_numIdEPS1_S4_EviT3_lllT4_lllT5_li.uses_flat_scratch, 0
	.set _ZL20rocblas_trmvn_kernelILi64ELi16ELb1ELb0EPK19rocblas_complex_numIdEPS1_S4_EviT3_lllT4_lllT5_li.has_dyn_sized_stack, 0
	.set _ZL20rocblas_trmvn_kernelILi64ELi16ELb1ELb0EPK19rocblas_complex_numIdEPS1_S4_EviT3_lllT4_lllT5_li.has_recursion, 0
	.set _ZL20rocblas_trmvn_kernelILi64ELi16ELb1ELb0EPK19rocblas_complex_numIdEPS1_S4_EviT3_lllT4_lllT5_li.has_indirect_call, 0
	.section	.AMDGPU.csdata,"",@progbits
; Kernel info:
; codeLenInByte = 1352
; TotalNumSgprs: 29
; NumVgprs: 22
; ScratchSize: 0
; MemoryBound: 0
; FloatMode: 240
; IeeeMode: 1
; LDSByteSize: 16384 bytes/workgroup (compile time only)
; SGPRBlocks: 0
; VGPRBlocks: 2
; NumSGPRsForWavesPerEU: 29
; NumVGPRsForWavesPerEU: 22
; Occupancy: 16
; WaveLimiterHint : 0
; COMPUTE_PGM_RSRC2:SCRATCH_EN: 0
; COMPUTE_PGM_RSRC2:USER_SGPR: 6
; COMPUTE_PGM_RSRC2:TRAP_HANDLER: 0
; COMPUTE_PGM_RSRC2:TGID_X_EN: 1
; COMPUTE_PGM_RSRC2:TGID_Y_EN: 0
; COMPUTE_PGM_RSRC2:TGID_Z_EN: 1
; COMPUTE_PGM_RSRC2:TIDIG_COMP_CNT: 1
	.section	.text._ZL20rocblas_trmvt_kernelILi512ELb1ELb0ELb0EPK19rocblas_complex_numIdEPS1_S4_EviT3_lllT4_lllT5_li,"axG",@progbits,_ZL20rocblas_trmvt_kernelILi512ELb1ELb0ELb0EPK19rocblas_complex_numIdEPS1_S4_EviT3_lllT4_lllT5_li,comdat
	.globl	_ZL20rocblas_trmvt_kernelILi512ELb1ELb0ELb0EPK19rocblas_complex_numIdEPS1_S4_EviT3_lllT4_lllT5_li ; -- Begin function _ZL20rocblas_trmvt_kernelILi512ELb1ELb0ELb0EPK19rocblas_complex_numIdEPS1_S4_EviT3_lllT4_lllT5_li
	.p2align	8
	.type	_ZL20rocblas_trmvt_kernelILi512ELb1ELb0ELb0EPK19rocblas_complex_numIdEPS1_S4_EviT3_lllT4_lllT5_li,@function
_ZL20rocblas_trmvt_kernelILi512ELb1ELb0ELb0EPK19rocblas_complex_numIdEPS1_S4_EviT3_lllT4_lllT5_li: ; @_ZL20rocblas_trmvt_kernelILi512ELb1ELb0ELb0EPK19rocblas_complex_numIdEPS1_S4_EviT3_lllT4_lllT5_li
; %bb.0:
	s_clause 0x1
	s_load_dwordx16 s[8:23], s[4:5], 0x8
	s_load_dword s3, s[4:5], 0x0
	s_mov_b32 s0, s7
	s_ashr_i32 s7, s6, 31
	v_mov_b32_e32 v1, 0
	v_mov_b32_e32 v3, 0
	v_cmp_eq_u32_e32 vcc_lo, 0, v0
	v_mov_b32_e32 v2, 0
	v_mov_b32_e32 v4, 0
	s_waitcnt lgkmcnt(0)
	s_mul_i32 s2, s15, s0
	v_cmp_gt_i32_e64 s1, s3, v0
	s_mul_hi_u32 s15, s14, s0
	s_mul_hi_u32 s25, s12, s6
	s_mul_i32 s26, s12, s7
	s_mul_i32 s23, s23, s0
	v_cndmask_b32_e64 v5, 0, v0, s1
	s_mul_hi_u32 s24, s22, s0
	s_mul_i32 s13, s13, s6
	s_add_i32 s15, s15, s2
	s_add_i32 s2, s25, s26
	v_lshlrev_b32_e32 v5, 4, v5
	s_mul_i32 s14, s14, s0
	s_add_i32 s23, s24, s23
	s_mul_i32 s22, s22, s0
	s_add_i32 s13, s2, s13
	s_mul_i32 s12, s12, s6
	s_and_saveexec_b32 s24, vcc_lo
	s_cbranch_execz .LBB46_2
; %bb.1:
	s_lshl_b64 s[26:27], s[14:15], 4
	s_add_u32 s2, s8, s26
	s_addc_u32 s25, s9, s27
	s_lshl_b64 s[26:27], s[10:11], 4
	s_add_u32 s2, s2, s26
	s_addc_u32 s25, s25, s27
	s_lshl_b64 s[26:27], s[22:23], 4
	v_add_co_u32 v1, s2, s2, v5
	s_add_u32 s28, s16, s26
	s_addc_u32 s29, s17, s27
	s_lshl_b64 s[26:27], s[18:19], 4
	v_add_co_ci_u32_e64 v2, null, s25, 0, s2
	s_add_u32 s28, s28, s26
	s_addc_u32 s29, s29, s27
	s_lshl_b64 s[26:27], s[12:13], 4
	s_mul_hi_u32 s25, s20, s6
	v_add_co_u32 v1, s2, v1, s26
	v_add_co_ci_u32_e64 v2, null, s27, v2, s2
	s_lshl_b64 s[26:27], s[6:7], 4
	v_add_co_u32 v1, s2, v1, s26
	v_add_co_ci_u32_e64 v2, null, s27, v2, s2
	s_mul_i32 s2, s20, s7
	s_mul_i32 s27, s21, s6
	s_add_i32 s2, s25, s2
	global_load_dwordx4 v[1:4], v[1:2], off
	s_mul_i32 s26, s20, s6
	s_add_i32 s27, s2, s27
	s_lshl_b64 s[26:27], s[26:27], 4
	s_add_u32 s26, s28, s26
	s_addc_u32 s27, s29, s27
	s_load_dwordx4 s[28:31], s[26:27], 0x0
	s_waitcnt vmcnt(0) lgkmcnt(0)
	v_mul_f64 v[6:7], v[3:4], s[30:31]
	v_mul_f64 v[8:9], v[1:2], s[30:31]
	v_fma_f64 v[1:2], v[1:2], s[28:29], -v[6:7]
	v_fma_f64 v[3:4], v[3:4], s[28:29], v[8:9]
	v_add_f64 v[1:2], v[1:2], 0
	v_add_f64 v[3:4], v[3:4], 0
.LBB46_2:
	s_or_b32 exec_lo, exec_lo, s24
	s_and_saveexec_b32 s24, s1
	s_cbranch_execz .LBB46_8
; %bb.3:
	v_mad_u64_u32 v[6:7], null, s20, v0, 0
	s_lshl_b64 s[18:19], s[18:19], 4
	s_lshl_b64 s[22:23], s[22:23], 4
	s_add_u32 s1, s16, s18
	s_addc_u32 s2, s17, s19
	s_add_u32 s1, s1, s22
	s_addc_u32 s2, s2, s23
	v_mad_u64_u32 v[7:8], null, s21, v0, v[7:8]
	s_lshl_b64 s[16:17], s[12:13], 4
	s_lshl_b64 s[14:15], s[14:15], 4
	;; [unrolled: 1-line block ×3, first 2 shown]
	s_add_u32 s14, s16, s14
	s_addc_u32 s15, s17, s15
	s_lshl_b64 s[10:11], s[10:11], 4
	v_lshlrev_b64 v[6:7], 4, v[6:7]
	s_add_u32 s10, s14, s10
	s_addc_u32 s11, s15, s11
	s_add_u32 s8, s8, s10
	s_addc_u32 s9, s9, s11
	v_add_co_u32 v6, s1, s1, v6
	v_add_co_ci_u32_e64 v7, null, s2, v7, s1
	v_add_co_u32 v8, s1, s8, v5
	v_add_co_ci_u32_e64 v9, null, s9, 0, s1
	;; [unrolled: 2-line block ×4, first 2 shown]
	v_mov_b32_e32 v9, v0
	s_mov_b32 s8, 0
	s_inst_prefetch 0x1
	s_branch .LBB46_5
	.p2align	6
.LBB46_4:                               ;   in Loop: Header=BB46_5 Depth=1
	s_or_b32 exec_lo, exec_lo, s2
	v_add_nc_u32_e32 v9, 0x200, v9
	v_add_co_u32 v5, s1, v5, s12
	v_add_co_ci_u32_e64 v6, null, s13, v6, s1
	v_cmp_le_i32_e64 s1, s3, v9
	v_add_co_u32 v7, s2, 0x2000, v7
	v_add_co_ci_u32_e64 v8, null, 0, v8, s2
	s_or_b32 s8, s1, s8
	s_andn2_b32 exec_lo, exec_lo, s8
	s_cbranch_execz .LBB46_7
.LBB46_5:                               ; =>This Inner Loop Header: Depth=1
	s_mov_b32 s2, exec_lo
	v_cmpx_lt_i32_e64 s6, v9
	s_cbranch_execz .LBB46_4
; %bb.6:                                ;   in Loop: Header=BB46_5 Depth=1
	global_load_dwordx4 v[10:13], v[7:8], off offset:-8
	global_load_dwordx4 v[14:17], v[5:6], off offset:-8
	s_waitcnt vmcnt(0)
	v_mul_f64 v[18:19], v[12:13], v[16:17]
	v_mul_f64 v[16:17], v[10:11], v[16:17]
	v_fma_f64 v[10:11], v[10:11], v[14:15], -v[18:19]
	v_fma_f64 v[12:13], v[12:13], v[14:15], v[16:17]
	v_add_f64 v[1:2], v[1:2], v[10:11]
	v_add_f64 v[3:4], v[3:4], v[12:13]
	s_branch .LBB46_4
.LBB46_7:
	s_inst_prefetch 0x2
	s_or_b32 exec_lo, exec_lo, s8
.LBB46_8:
	s_or_b32 exec_lo, exec_lo, s24
	v_and_b32_e32 v14, 31, v0
	v_cmp_gt_u32_e64 s1, 32, v0
	v_lshlrev_b32_e32 v9, 4, v14
	s_and_saveexec_b32 s2, s1
	s_cbranch_execz .LBB46_10
; %bb.9:
	v_mov_b32_e32 v5, 0
	v_mov_b32_e32 v6, v5
	;; [unrolled: 1-line block ×4, first 2 shown]
	ds_write_b128 v9, v[5:8]
.LBB46_10:
	s_or_b32 exec_lo, exec_lo, s2
	v_mbcnt_lo_u32_b32 v13, -1, 0
	s_mov_b32 s3, exec_lo
	s_waitcnt lgkmcnt(0)
	s_barrier
	buffer_gl0_inv
	v_lshl_or_b32 v8, v13, 2, 64
	v_cmp_gt_u32_e64 s2, 24, v13
	ds_bpermute_b32 v5, v8, v1
	ds_bpermute_b32 v6, v8, v2
	;; [unrolled: 1-line block ×4, first 2 shown]
	s_waitcnt lgkmcnt(2)
	v_add_f64 v[1:2], v[1:2], v[5:6]
	v_cndmask_b32_e64 v5, 0, 8, s2
	s_waitcnt lgkmcnt(0)
	v_add_f64 v[3:4], v[3:4], v[7:8]
	v_cmp_gt_u32_e64 s2, 28, v13
	v_add_lshl_u32 v10, v5, v13, 2
	ds_bpermute_b32 v5, v10, v1
	ds_bpermute_b32 v6, v10, v2
	;; [unrolled: 1-line block ×4, first 2 shown]
	s_waitcnt lgkmcnt(2)
	v_add_f64 v[1:2], v[1:2], v[5:6]
	v_cndmask_b32_e64 v5, 0, 4, s2
	s_waitcnt lgkmcnt(0)
	v_add_f64 v[3:4], v[3:4], v[7:8]
	v_cmp_gt_u32_e64 s2, 30, v13
	v_add_lshl_u32 v11, v5, v13, 2
	ds_bpermute_b32 v5, v11, v1
	ds_bpermute_b32 v6, v11, v2
	;; [unrolled: 1-line block ×4, first 2 shown]
	s_waitcnt lgkmcnt(2)
	v_add_f64 v[1:2], v[1:2], v[5:6]
	v_cndmask_b32_e64 v5, 0, 2, s2
	s_waitcnt lgkmcnt(0)
	v_add_f64 v[3:4], v[3:4], v[7:8]
	v_cmp_ne_u32_e64 s2, 31, v13
	v_add_lshl_u32 v12, v5, v13, 2
	ds_bpermute_b32 v5, v12, v1
	ds_bpermute_b32 v6, v12, v2
	;; [unrolled: 1-line block ×4, first 2 shown]
	s_waitcnt lgkmcnt(2)
	v_add_f64 v[1:2], v[1:2], v[5:6]
	v_add_co_ci_u32_e64 v5, null, 0, v13, s2
	s_waitcnt lgkmcnt(0)
	v_add_f64 v[3:4], v[3:4], v[7:8]
	v_lshlrev_b32_e32 v13, 2, v5
	ds_bpermute_b32 v5, v13, v1
	ds_bpermute_b32 v6, v13, v2
	;; [unrolled: 1-line block ×4, first 2 shown]
	v_cmpx_eq_u32_e32 0, v14
	s_cbranch_execz .LBB46_12
; %bb.11:
	s_waitcnt lgkmcnt(0)
	v_add_f64 v[3:4], v[3:4], v[7:8]
	v_add_f64 v[1:2], v[1:2], v[5:6]
	v_lshrrev_b32_e32 v5, 1, v0
	v_and_b32_e32 v5, 0xf0, v5
	ds_write_b128 v5, v[1:4]
.LBB46_12:
	s_or_b32 exec_lo, exec_lo, s3
	v_mov_b32_e32 v3, 0
	v_mov_b32_e32 v1, 0
	;; [unrolled: 1-line block ×4, first 2 shown]
	s_mov_b32 s3, exec_lo
	s_waitcnt lgkmcnt(0)
	s_barrier
	buffer_gl0_inv
	v_cmpx_gt_u32_e32 16, v0
	s_cbranch_execnz .LBB46_16
; %bb.13:
	s_or_b32 exec_lo, exec_lo, s3
	s_and_saveexec_b32 s2, s1
	s_cbranch_execnz .LBB46_17
.LBB46_14:
	s_or_b32 exec_lo, exec_lo, s2
	s_and_saveexec_b32 s1, vcc_lo
	s_cbranch_execnz .LBB46_18
.LBB46_15:
	s_endpgm
.LBB46_16:
	ds_read_b128 v[1:4], v9
	s_or_b32 exec_lo, exec_lo, s3
	s_and_saveexec_b32 s2, s1
	s_cbranch_execz .LBB46_14
.LBB46_17:
	s_waitcnt lgkmcnt(0)
	ds_bpermute_b32 v5, v10, v1
	ds_bpermute_b32 v6, v10, v2
	ds_bpermute_b32 v7, v10, v3
	ds_bpermute_b32 v8, v10, v4
	s_waitcnt lgkmcnt(2)
	v_add_f64 v[0:1], v[1:2], v[5:6]
	s_waitcnt lgkmcnt(0)
	v_add_f64 v[2:3], v[3:4], v[7:8]
	ds_bpermute_b32 v4, v11, v0
	ds_bpermute_b32 v5, v11, v1
	ds_bpermute_b32 v6, v11, v2
	ds_bpermute_b32 v7, v11, v3
	s_waitcnt lgkmcnt(2)
	v_add_f64 v[0:1], v[0:1], v[4:5]
	s_waitcnt lgkmcnt(0)
	v_add_f64 v[2:3], v[2:3], v[6:7]
	;; [unrolled: 8-line block ×4, first 2 shown]
	s_or_b32 exec_lo, exec_lo, s2
	s_and_saveexec_b32 s1, vcc_lo
	s_cbranch_execz .LBB46_15
.LBB46_18:
	s_load_dwordx4 s[8:11], s[4:5], 0x48
	v_mov_b32_e32 v0, 0
	s_waitcnt lgkmcnt(0)
	s_mul_i32 s1, s11, s0
	s_mul_hi_u32 s2, s10, s0
	s_mul_i32 s0, s10, s0
	s_add_i32 s1, s2, s1
	s_lshl_b64 s[0:1], s[0:1], 4
	s_add_u32 s2, s8, s0
	s_addc_u32 s3, s9, s1
	s_lshl_b64 s[0:1], s[6:7], 4
	s_add_u32 s0, s2, s0
	s_addc_u32 s1, s3, s1
	global_store_dwordx4 v0, v[1:4], s[0:1]
	s_endpgm
	.section	.rodata,"a",@progbits
	.p2align	6, 0x0
	.amdhsa_kernel _ZL20rocblas_trmvt_kernelILi512ELb1ELb0ELb0EPK19rocblas_complex_numIdEPS1_S4_EviT3_lllT4_lllT5_li
		.amdhsa_group_segment_fixed_size 512
		.amdhsa_private_segment_fixed_size 0
		.amdhsa_kernarg_size 92
		.amdhsa_user_sgpr_count 6
		.amdhsa_user_sgpr_private_segment_buffer 1
		.amdhsa_user_sgpr_dispatch_ptr 0
		.amdhsa_user_sgpr_queue_ptr 0
		.amdhsa_user_sgpr_kernarg_segment_ptr 1
		.amdhsa_user_sgpr_dispatch_id 0
		.amdhsa_user_sgpr_flat_scratch_init 0
		.amdhsa_user_sgpr_private_segment_size 0
		.amdhsa_wavefront_size32 1
		.amdhsa_uses_dynamic_stack 0
		.amdhsa_system_sgpr_private_segment_wavefront_offset 0
		.amdhsa_system_sgpr_workgroup_id_x 1
		.amdhsa_system_sgpr_workgroup_id_y 0
		.amdhsa_system_sgpr_workgroup_id_z 1
		.amdhsa_system_sgpr_workgroup_info 0
		.amdhsa_system_vgpr_workitem_id 0
		.amdhsa_next_free_vgpr 20
		.amdhsa_next_free_sgpr 32
		.amdhsa_reserve_vcc 1
		.amdhsa_reserve_flat_scratch 0
		.amdhsa_float_round_mode_32 0
		.amdhsa_float_round_mode_16_64 0
		.amdhsa_float_denorm_mode_32 3
		.amdhsa_float_denorm_mode_16_64 3
		.amdhsa_dx10_clamp 1
		.amdhsa_ieee_mode 1
		.amdhsa_fp16_overflow 0
		.amdhsa_workgroup_processor_mode 1
		.amdhsa_memory_ordered 1
		.amdhsa_forward_progress 1
		.amdhsa_shared_vgpr_count 0
		.amdhsa_exception_fp_ieee_invalid_op 0
		.amdhsa_exception_fp_denorm_src 0
		.amdhsa_exception_fp_ieee_div_zero 0
		.amdhsa_exception_fp_ieee_overflow 0
		.amdhsa_exception_fp_ieee_underflow 0
		.amdhsa_exception_fp_ieee_inexact 0
		.amdhsa_exception_int_div_zero 0
	.end_amdhsa_kernel
	.section	.text._ZL20rocblas_trmvt_kernelILi512ELb1ELb0ELb0EPK19rocblas_complex_numIdEPS1_S4_EviT3_lllT4_lllT5_li,"axG",@progbits,_ZL20rocblas_trmvt_kernelILi512ELb1ELb0ELb0EPK19rocblas_complex_numIdEPS1_S4_EviT3_lllT4_lllT5_li,comdat
.Lfunc_end46:
	.size	_ZL20rocblas_trmvt_kernelILi512ELb1ELb0ELb0EPK19rocblas_complex_numIdEPS1_S4_EviT3_lllT4_lllT5_li, .Lfunc_end46-_ZL20rocblas_trmvt_kernelILi512ELb1ELb0ELb0EPK19rocblas_complex_numIdEPS1_S4_EviT3_lllT4_lllT5_li
                                        ; -- End function
	.set _ZL20rocblas_trmvt_kernelILi512ELb1ELb0ELb0EPK19rocblas_complex_numIdEPS1_S4_EviT3_lllT4_lllT5_li.num_vgpr, 20
	.set _ZL20rocblas_trmvt_kernelILi512ELb1ELb0ELb0EPK19rocblas_complex_numIdEPS1_S4_EviT3_lllT4_lllT5_li.num_agpr, 0
	.set _ZL20rocblas_trmvt_kernelILi512ELb1ELb0ELb0EPK19rocblas_complex_numIdEPS1_S4_EviT3_lllT4_lllT5_li.numbered_sgpr, 32
	.set _ZL20rocblas_trmvt_kernelILi512ELb1ELb0ELb0EPK19rocblas_complex_numIdEPS1_S4_EviT3_lllT4_lllT5_li.num_named_barrier, 0
	.set _ZL20rocblas_trmvt_kernelILi512ELb1ELb0ELb0EPK19rocblas_complex_numIdEPS1_S4_EviT3_lllT4_lllT5_li.private_seg_size, 0
	.set _ZL20rocblas_trmvt_kernelILi512ELb1ELb0ELb0EPK19rocblas_complex_numIdEPS1_S4_EviT3_lllT4_lllT5_li.uses_vcc, 1
	.set _ZL20rocblas_trmvt_kernelILi512ELb1ELb0ELb0EPK19rocblas_complex_numIdEPS1_S4_EviT3_lllT4_lllT5_li.uses_flat_scratch, 0
	.set _ZL20rocblas_trmvt_kernelILi512ELb1ELb0ELb0EPK19rocblas_complex_numIdEPS1_S4_EviT3_lllT4_lllT5_li.has_dyn_sized_stack, 0
	.set _ZL20rocblas_trmvt_kernelILi512ELb1ELb0ELb0EPK19rocblas_complex_numIdEPS1_S4_EviT3_lllT4_lllT5_li.has_recursion, 0
	.set _ZL20rocblas_trmvt_kernelILi512ELb1ELb0ELb0EPK19rocblas_complex_numIdEPS1_S4_EviT3_lllT4_lllT5_li.has_indirect_call, 0
	.section	.AMDGPU.csdata,"",@progbits
; Kernel info:
; codeLenInByte = 1632
; TotalNumSgprs: 34
; NumVgprs: 20
; ScratchSize: 0
; MemoryBound: 0
; FloatMode: 240
; IeeeMode: 1
; LDSByteSize: 512 bytes/workgroup (compile time only)
; SGPRBlocks: 0
; VGPRBlocks: 2
; NumSGPRsForWavesPerEU: 34
; NumVGPRsForWavesPerEU: 20
; Occupancy: 16
; WaveLimiterHint : 0
; COMPUTE_PGM_RSRC2:SCRATCH_EN: 0
; COMPUTE_PGM_RSRC2:USER_SGPR: 6
; COMPUTE_PGM_RSRC2:TRAP_HANDLER: 0
; COMPUTE_PGM_RSRC2:TGID_X_EN: 1
; COMPUTE_PGM_RSRC2:TGID_Y_EN: 0
; COMPUTE_PGM_RSRC2:TGID_Z_EN: 1
; COMPUTE_PGM_RSRC2:TIDIG_COMP_CNT: 0
	.section	.text._ZL20rocblas_trmvt_kernelILi512ELb1ELb1ELb0EPK19rocblas_complex_numIdEPS1_S4_EviT3_lllT4_lllT5_li,"axG",@progbits,_ZL20rocblas_trmvt_kernelILi512ELb1ELb1ELb0EPK19rocblas_complex_numIdEPS1_S4_EviT3_lllT4_lllT5_li,comdat
	.globl	_ZL20rocblas_trmvt_kernelILi512ELb1ELb1ELb0EPK19rocblas_complex_numIdEPS1_S4_EviT3_lllT4_lllT5_li ; -- Begin function _ZL20rocblas_trmvt_kernelILi512ELb1ELb1ELb0EPK19rocblas_complex_numIdEPS1_S4_EviT3_lllT4_lllT5_li
	.p2align	8
	.type	_ZL20rocblas_trmvt_kernelILi512ELb1ELb1ELb0EPK19rocblas_complex_numIdEPS1_S4_EviT3_lllT4_lllT5_li,@function
_ZL20rocblas_trmvt_kernelILi512ELb1ELb1ELb0EPK19rocblas_complex_numIdEPS1_S4_EviT3_lllT4_lllT5_li: ; @_ZL20rocblas_trmvt_kernelILi512ELb1ELb1ELb0EPK19rocblas_complex_numIdEPS1_S4_EviT3_lllT4_lllT5_li
; %bb.0:
	s_clause 0x1
	s_load_dwordx16 s[8:23], s[4:5], 0x8
	s_load_dword s3, s[4:5], 0x0
	s_mov_b32 s0, s7
	s_ashr_i32 s7, s6, 31
	v_mov_b32_e32 v1, 0
	v_mov_b32_e32 v3, 0
	v_cmp_eq_u32_e32 vcc_lo, 0, v0
	v_mov_b32_e32 v2, 0
	v_mov_b32_e32 v4, 0
	s_waitcnt lgkmcnt(0)
	s_mul_i32 s2, s15, s0
	v_cmp_gt_i32_e64 s1, s3, v0
	s_mul_hi_u32 s15, s14, s0
	s_mul_hi_u32 s25, s12, s6
	s_mul_i32 s26, s12, s7
	s_mul_i32 s23, s23, s0
	v_cndmask_b32_e64 v5, 0, v0, s1
	s_mul_hi_u32 s24, s22, s0
	s_mul_i32 s13, s13, s6
	s_add_i32 s15, s15, s2
	s_add_i32 s2, s25, s26
	v_lshlrev_b32_e32 v5, 4, v5
	s_mul_i32 s14, s14, s0
	s_add_i32 s23, s24, s23
	s_mul_i32 s22, s22, s0
	s_add_i32 s13, s2, s13
	s_mul_i32 s12, s12, s6
	s_and_saveexec_b32 s24, vcc_lo
	s_cbranch_execz .LBB47_2
; %bb.1:
	s_lshl_b64 s[26:27], s[14:15], 4
	s_add_u32 s2, s8, s26
	s_addc_u32 s25, s9, s27
	s_lshl_b64 s[26:27], s[10:11], 4
	s_add_u32 s2, s2, s26
	s_addc_u32 s25, s25, s27
	s_lshl_b64 s[26:27], s[22:23], 4
	v_add_co_u32 v1, s2, s2, v5
	s_add_u32 s28, s16, s26
	s_addc_u32 s29, s17, s27
	s_lshl_b64 s[26:27], s[18:19], 4
	v_add_co_ci_u32_e64 v2, null, s25, 0, s2
	s_add_u32 s28, s28, s26
	s_addc_u32 s29, s29, s27
	s_lshl_b64 s[26:27], s[12:13], 4
	s_mul_hi_u32 s25, s20, s6
	v_add_co_u32 v1, s2, v1, s26
	v_add_co_ci_u32_e64 v2, null, s27, v2, s2
	s_lshl_b64 s[26:27], s[6:7], 4
	v_add_co_u32 v1, s2, v1, s26
	v_add_co_ci_u32_e64 v2, null, s27, v2, s2
	s_mul_i32 s2, s20, s7
	s_mul_i32 s27, s21, s6
	s_add_i32 s2, s25, s2
	global_load_dwordx4 v[1:4], v[1:2], off
	s_mul_i32 s26, s20, s6
	s_add_i32 s27, s2, s27
	s_lshl_b64 s[26:27], s[26:27], 4
	s_add_u32 s26, s28, s26
	s_addc_u32 s27, s29, s27
	s_load_dwordx4 s[28:31], s[26:27], 0x0
	s_waitcnt vmcnt(0) lgkmcnt(0)
	v_mul_f64 v[6:7], v[3:4], s[30:31]
	v_mul_f64 v[3:4], v[3:4], s[28:29]
	v_fma_f64 v[6:7], v[1:2], s[28:29], v[6:7]
	v_fma_f64 v[3:4], v[1:2], s[30:31], -v[3:4]
	v_add_f64 v[1:2], v[6:7], 0
	v_add_f64 v[3:4], v[3:4], 0
.LBB47_2:
	s_or_b32 exec_lo, exec_lo, s24
	s_and_saveexec_b32 s24, s1
	s_cbranch_execz .LBB47_8
; %bb.3:
	v_mad_u64_u32 v[6:7], null, s20, v0, 0
	s_lshl_b64 s[18:19], s[18:19], 4
	s_lshl_b64 s[22:23], s[22:23], 4
	s_add_u32 s1, s16, s18
	s_addc_u32 s2, s17, s19
	s_add_u32 s1, s1, s22
	s_addc_u32 s2, s2, s23
	v_mad_u64_u32 v[7:8], null, s21, v0, v[7:8]
	s_lshl_b64 s[16:17], s[12:13], 4
	s_lshl_b64 s[14:15], s[14:15], 4
	;; [unrolled: 1-line block ×3, first 2 shown]
	s_add_u32 s14, s16, s14
	s_addc_u32 s15, s17, s15
	s_lshl_b64 s[10:11], s[10:11], 4
	v_lshlrev_b64 v[6:7], 4, v[6:7]
	s_add_u32 s10, s14, s10
	s_addc_u32 s11, s15, s11
	s_add_u32 s8, s8, s10
	s_addc_u32 s9, s9, s11
	v_add_co_u32 v6, s1, s1, v6
	v_add_co_ci_u32_e64 v7, null, s2, v7, s1
	v_add_co_u32 v8, s1, s8, v5
	v_add_co_ci_u32_e64 v9, null, s9, 0, s1
	v_add_co_u32 v5, s1, v6, 8
	v_add_co_ci_u32_e64 v6, null, 0, v7, s1
	v_add_co_u32 v7, s1, v8, 8
	v_add_co_ci_u32_e64 v8, null, 0, v9, s1
	v_mov_b32_e32 v9, v0
	s_mov_b32 s8, 0
	s_inst_prefetch 0x1
	s_branch .LBB47_5
	.p2align	6
.LBB47_4:                               ;   in Loop: Header=BB47_5 Depth=1
	s_or_b32 exec_lo, exec_lo, s2
	v_add_nc_u32_e32 v9, 0x200, v9
	v_add_co_u32 v5, s1, v5, s12
	v_add_co_ci_u32_e64 v6, null, s13, v6, s1
	v_cmp_le_i32_e64 s1, s3, v9
	v_add_co_u32 v7, s2, 0x2000, v7
	v_add_co_ci_u32_e64 v8, null, 0, v8, s2
	s_or_b32 s8, s1, s8
	s_andn2_b32 exec_lo, exec_lo, s8
	s_cbranch_execz .LBB47_7
.LBB47_5:                               ; =>This Inner Loop Header: Depth=1
	s_mov_b32 s2, exec_lo
	v_cmpx_lt_i32_e64 s6, v9
	s_cbranch_execz .LBB47_4
; %bb.6:                                ;   in Loop: Header=BB47_5 Depth=1
	global_load_dwordx4 v[10:13], v[7:8], off offset:-8
	global_load_dwordx4 v[14:17], v[5:6], off offset:-8
	s_waitcnt vmcnt(0)
	v_mul_f64 v[18:19], v[12:13], v[16:17]
	v_mul_f64 v[12:13], v[12:13], v[14:15]
	v_fma_f64 v[14:15], v[10:11], v[14:15], v[18:19]
	v_fma_f64 v[10:11], v[10:11], v[16:17], -v[12:13]
	v_add_f64 v[1:2], v[1:2], v[14:15]
	v_add_f64 v[3:4], v[3:4], v[10:11]
	s_branch .LBB47_4
.LBB47_7:
	s_inst_prefetch 0x2
	s_or_b32 exec_lo, exec_lo, s8
.LBB47_8:
	s_or_b32 exec_lo, exec_lo, s24
	v_and_b32_e32 v14, 31, v0
	v_cmp_gt_u32_e64 s1, 32, v0
	v_lshlrev_b32_e32 v9, 4, v14
	s_and_saveexec_b32 s2, s1
	s_cbranch_execz .LBB47_10
; %bb.9:
	v_mov_b32_e32 v5, 0
	v_mov_b32_e32 v6, v5
	;; [unrolled: 1-line block ×4, first 2 shown]
	ds_write_b128 v9, v[5:8]
.LBB47_10:
	s_or_b32 exec_lo, exec_lo, s2
	v_mbcnt_lo_u32_b32 v13, -1, 0
	s_mov_b32 s3, exec_lo
	s_waitcnt lgkmcnt(0)
	s_barrier
	buffer_gl0_inv
	v_lshl_or_b32 v8, v13, 2, 64
	v_cmp_gt_u32_e64 s2, 24, v13
	ds_bpermute_b32 v5, v8, v1
	ds_bpermute_b32 v6, v8, v2
	;; [unrolled: 1-line block ×4, first 2 shown]
	s_waitcnt lgkmcnt(2)
	v_add_f64 v[1:2], v[1:2], v[5:6]
	v_cndmask_b32_e64 v5, 0, 8, s2
	s_waitcnt lgkmcnt(0)
	v_add_f64 v[3:4], v[3:4], v[7:8]
	v_cmp_gt_u32_e64 s2, 28, v13
	v_add_lshl_u32 v10, v5, v13, 2
	ds_bpermute_b32 v5, v10, v1
	ds_bpermute_b32 v6, v10, v2
	;; [unrolled: 1-line block ×4, first 2 shown]
	s_waitcnt lgkmcnt(2)
	v_add_f64 v[1:2], v[1:2], v[5:6]
	v_cndmask_b32_e64 v5, 0, 4, s2
	s_waitcnt lgkmcnt(0)
	v_add_f64 v[3:4], v[3:4], v[7:8]
	v_cmp_gt_u32_e64 s2, 30, v13
	v_add_lshl_u32 v11, v5, v13, 2
	ds_bpermute_b32 v5, v11, v1
	ds_bpermute_b32 v6, v11, v2
	ds_bpermute_b32 v7, v11, v3
	ds_bpermute_b32 v8, v11, v4
	s_waitcnt lgkmcnt(2)
	v_add_f64 v[1:2], v[1:2], v[5:6]
	v_cndmask_b32_e64 v5, 0, 2, s2
	s_waitcnt lgkmcnt(0)
	v_add_f64 v[3:4], v[3:4], v[7:8]
	v_cmp_ne_u32_e64 s2, 31, v13
	v_add_lshl_u32 v12, v5, v13, 2
	ds_bpermute_b32 v5, v12, v1
	ds_bpermute_b32 v6, v12, v2
	;; [unrolled: 1-line block ×4, first 2 shown]
	s_waitcnt lgkmcnt(2)
	v_add_f64 v[1:2], v[1:2], v[5:6]
	v_add_co_ci_u32_e64 v5, null, 0, v13, s2
	s_waitcnt lgkmcnt(0)
	v_add_f64 v[3:4], v[3:4], v[7:8]
	v_lshlrev_b32_e32 v13, 2, v5
	ds_bpermute_b32 v5, v13, v1
	ds_bpermute_b32 v6, v13, v2
	;; [unrolled: 1-line block ×4, first 2 shown]
	v_cmpx_eq_u32_e32 0, v14
	s_cbranch_execz .LBB47_12
; %bb.11:
	s_waitcnt lgkmcnt(0)
	v_add_f64 v[3:4], v[3:4], v[7:8]
	v_add_f64 v[1:2], v[1:2], v[5:6]
	v_lshrrev_b32_e32 v5, 1, v0
	v_and_b32_e32 v5, 0xf0, v5
	ds_write_b128 v5, v[1:4]
.LBB47_12:
	s_or_b32 exec_lo, exec_lo, s3
	v_mov_b32_e32 v3, 0
	v_mov_b32_e32 v1, 0
	;; [unrolled: 1-line block ×4, first 2 shown]
	s_mov_b32 s3, exec_lo
	s_waitcnt lgkmcnt(0)
	s_barrier
	buffer_gl0_inv
	v_cmpx_gt_u32_e32 16, v0
	s_cbranch_execnz .LBB47_16
; %bb.13:
	s_or_b32 exec_lo, exec_lo, s3
	s_and_saveexec_b32 s2, s1
	s_cbranch_execnz .LBB47_17
.LBB47_14:
	s_or_b32 exec_lo, exec_lo, s2
	s_and_saveexec_b32 s1, vcc_lo
	s_cbranch_execnz .LBB47_18
.LBB47_15:
	s_endpgm
.LBB47_16:
	ds_read_b128 v[1:4], v9
	s_or_b32 exec_lo, exec_lo, s3
	s_and_saveexec_b32 s2, s1
	s_cbranch_execz .LBB47_14
.LBB47_17:
	s_waitcnt lgkmcnt(0)
	ds_bpermute_b32 v5, v10, v1
	ds_bpermute_b32 v6, v10, v2
	ds_bpermute_b32 v7, v10, v3
	ds_bpermute_b32 v8, v10, v4
	s_waitcnt lgkmcnt(2)
	v_add_f64 v[0:1], v[1:2], v[5:6]
	s_waitcnt lgkmcnt(0)
	v_add_f64 v[2:3], v[3:4], v[7:8]
	ds_bpermute_b32 v4, v11, v0
	ds_bpermute_b32 v5, v11, v1
	ds_bpermute_b32 v6, v11, v2
	ds_bpermute_b32 v7, v11, v3
	s_waitcnt lgkmcnt(2)
	v_add_f64 v[0:1], v[0:1], v[4:5]
	s_waitcnt lgkmcnt(0)
	v_add_f64 v[2:3], v[2:3], v[6:7]
	;; [unrolled: 8-line block ×4, first 2 shown]
	s_or_b32 exec_lo, exec_lo, s2
	s_and_saveexec_b32 s1, vcc_lo
	s_cbranch_execz .LBB47_15
.LBB47_18:
	s_load_dwordx4 s[8:11], s[4:5], 0x48
	v_mov_b32_e32 v0, 0
	s_waitcnt lgkmcnt(0)
	s_mul_i32 s1, s11, s0
	s_mul_hi_u32 s2, s10, s0
	s_mul_i32 s0, s10, s0
	s_add_i32 s1, s2, s1
	s_lshl_b64 s[0:1], s[0:1], 4
	s_add_u32 s2, s8, s0
	s_addc_u32 s3, s9, s1
	s_lshl_b64 s[0:1], s[6:7], 4
	s_add_u32 s0, s2, s0
	s_addc_u32 s1, s3, s1
	global_store_dwordx4 v0, v[1:4], s[0:1]
	s_endpgm
	.section	.rodata,"a",@progbits
	.p2align	6, 0x0
	.amdhsa_kernel _ZL20rocblas_trmvt_kernelILi512ELb1ELb1ELb0EPK19rocblas_complex_numIdEPS1_S4_EviT3_lllT4_lllT5_li
		.amdhsa_group_segment_fixed_size 512
		.amdhsa_private_segment_fixed_size 0
		.amdhsa_kernarg_size 92
		.amdhsa_user_sgpr_count 6
		.amdhsa_user_sgpr_private_segment_buffer 1
		.amdhsa_user_sgpr_dispatch_ptr 0
		.amdhsa_user_sgpr_queue_ptr 0
		.amdhsa_user_sgpr_kernarg_segment_ptr 1
		.amdhsa_user_sgpr_dispatch_id 0
		.amdhsa_user_sgpr_flat_scratch_init 0
		.amdhsa_user_sgpr_private_segment_size 0
		.amdhsa_wavefront_size32 1
		.amdhsa_uses_dynamic_stack 0
		.amdhsa_system_sgpr_private_segment_wavefront_offset 0
		.amdhsa_system_sgpr_workgroup_id_x 1
		.amdhsa_system_sgpr_workgroup_id_y 0
		.amdhsa_system_sgpr_workgroup_id_z 1
		.amdhsa_system_sgpr_workgroup_info 0
		.amdhsa_system_vgpr_workitem_id 0
		.amdhsa_next_free_vgpr 20
		.amdhsa_next_free_sgpr 32
		.amdhsa_reserve_vcc 1
		.amdhsa_reserve_flat_scratch 0
		.amdhsa_float_round_mode_32 0
		.amdhsa_float_round_mode_16_64 0
		.amdhsa_float_denorm_mode_32 3
		.amdhsa_float_denorm_mode_16_64 3
		.amdhsa_dx10_clamp 1
		.amdhsa_ieee_mode 1
		.amdhsa_fp16_overflow 0
		.amdhsa_workgroup_processor_mode 1
		.amdhsa_memory_ordered 1
		.amdhsa_forward_progress 1
		.amdhsa_shared_vgpr_count 0
		.amdhsa_exception_fp_ieee_invalid_op 0
		.amdhsa_exception_fp_denorm_src 0
		.amdhsa_exception_fp_ieee_div_zero 0
		.amdhsa_exception_fp_ieee_overflow 0
		.amdhsa_exception_fp_ieee_underflow 0
		.amdhsa_exception_fp_ieee_inexact 0
		.amdhsa_exception_int_div_zero 0
	.end_amdhsa_kernel
	.section	.text._ZL20rocblas_trmvt_kernelILi512ELb1ELb1ELb0EPK19rocblas_complex_numIdEPS1_S4_EviT3_lllT4_lllT5_li,"axG",@progbits,_ZL20rocblas_trmvt_kernelILi512ELb1ELb1ELb0EPK19rocblas_complex_numIdEPS1_S4_EviT3_lllT4_lllT5_li,comdat
.Lfunc_end47:
	.size	_ZL20rocblas_trmvt_kernelILi512ELb1ELb1ELb0EPK19rocblas_complex_numIdEPS1_S4_EviT3_lllT4_lllT5_li, .Lfunc_end47-_ZL20rocblas_trmvt_kernelILi512ELb1ELb1ELb0EPK19rocblas_complex_numIdEPS1_S4_EviT3_lllT4_lllT5_li
                                        ; -- End function
	.set _ZL20rocblas_trmvt_kernelILi512ELb1ELb1ELb0EPK19rocblas_complex_numIdEPS1_S4_EviT3_lllT4_lllT5_li.num_vgpr, 20
	.set _ZL20rocblas_trmvt_kernelILi512ELb1ELb1ELb0EPK19rocblas_complex_numIdEPS1_S4_EviT3_lllT4_lllT5_li.num_agpr, 0
	.set _ZL20rocblas_trmvt_kernelILi512ELb1ELb1ELb0EPK19rocblas_complex_numIdEPS1_S4_EviT3_lllT4_lllT5_li.numbered_sgpr, 32
	.set _ZL20rocblas_trmvt_kernelILi512ELb1ELb1ELb0EPK19rocblas_complex_numIdEPS1_S4_EviT3_lllT4_lllT5_li.num_named_barrier, 0
	.set _ZL20rocblas_trmvt_kernelILi512ELb1ELb1ELb0EPK19rocblas_complex_numIdEPS1_S4_EviT3_lllT4_lllT5_li.private_seg_size, 0
	.set _ZL20rocblas_trmvt_kernelILi512ELb1ELb1ELb0EPK19rocblas_complex_numIdEPS1_S4_EviT3_lllT4_lllT5_li.uses_vcc, 1
	.set _ZL20rocblas_trmvt_kernelILi512ELb1ELb1ELb0EPK19rocblas_complex_numIdEPS1_S4_EviT3_lllT4_lllT5_li.uses_flat_scratch, 0
	.set _ZL20rocblas_trmvt_kernelILi512ELb1ELb1ELb0EPK19rocblas_complex_numIdEPS1_S4_EviT3_lllT4_lllT5_li.has_dyn_sized_stack, 0
	.set _ZL20rocblas_trmvt_kernelILi512ELb1ELb1ELb0EPK19rocblas_complex_numIdEPS1_S4_EviT3_lllT4_lllT5_li.has_recursion, 0
	.set _ZL20rocblas_trmvt_kernelILi512ELb1ELb1ELb0EPK19rocblas_complex_numIdEPS1_S4_EviT3_lllT4_lllT5_li.has_indirect_call, 0
	.section	.AMDGPU.csdata,"",@progbits
; Kernel info:
; codeLenInByte = 1632
; TotalNumSgprs: 34
; NumVgprs: 20
; ScratchSize: 0
; MemoryBound: 0
; FloatMode: 240
; IeeeMode: 1
; LDSByteSize: 512 bytes/workgroup (compile time only)
; SGPRBlocks: 0
; VGPRBlocks: 2
; NumSGPRsForWavesPerEU: 34
; NumVGPRsForWavesPerEU: 20
; Occupancy: 16
; WaveLimiterHint : 0
; COMPUTE_PGM_RSRC2:SCRATCH_EN: 0
; COMPUTE_PGM_RSRC2:USER_SGPR: 6
; COMPUTE_PGM_RSRC2:TRAP_HANDLER: 0
; COMPUTE_PGM_RSRC2:TGID_X_EN: 1
; COMPUTE_PGM_RSRC2:TGID_Y_EN: 0
; COMPUTE_PGM_RSRC2:TGID_Z_EN: 1
; COMPUTE_PGM_RSRC2:TIDIG_COMP_CNT: 0
	.section	.text._ZL20rocblas_trmvn_kernelILi64ELi16ELb0ELb1EPKPKfPKPfS4_EviT3_lllT4_lllT5_li,"axG",@progbits,_ZL20rocblas_trmvn_kernelILi64ELi16ELb0ELb1EPKPKfPKPfS4_EviT3_lllT4_lllT5_li,comdat
	.globl	_ZL20rocblas_trmvn_kernelILi64ELi16ELb0ELb1EPKPKfPKPfS4_EviT3_lllT4_lllT5_li ; -- Begin function _ZL20rocblas_trmvn_kernelILi64ELi16ELb0ELb1EPKPKfPKPfS4_EviT3_lllT4_lllT5_li
	.p2align	8
	.type	_ZL20rocblas_trmvn_kernelILi64ELi16ELb0ELb1EPKPKfPKPfS4_EviT3_lllT4_lllT5_li,@function
_ZL20rocblas_trmvn_kernelILi64ELi16ELb0ELb1EPKPKfPKPfS4_EviT3_lllT4_lllT5_li: ; @_ZL20rocblas_trmvn_kernelILi64ELi16ELb0ELb1EPKPKfPKPfS4_EviT3_lllT4_lllT5_li
; %bb.0:
	s_clause 0x1
	s_load_dwordx4 s[0:3], s[4:5], 0x8
	s_load_dwordx4 s[8:11], s[4:5], 0x28
	s_mov_b32 s12, s7
	s_mov_b32 s13, 0
	s_clause 0x1
	s_load_dword s18, s[4:5], 0x0
	s_load_dwordx2 s[14:15], s[4:5], 0x38
	s_lshl_b64 s[20:21], s[12:13], 3
	v_lshl_add_u32 v2, s6, 6, v0
	v_mov_b32_e32 v7, 0
	s_waitcnt lgkmcnt(0)
	s_add_u32 s16, s0, s20
	s_addc_u32 s17, s1, s21
	s_add_u32 s0, s8, s20
	s_addc_u32 s1, s9, s21
	v_cmp_gt_i32_e32 vcc_lo, s18, v2
	s_load_dwordx2 s[8:9], s[0:1], 0x0
	v_cmp_eq_u32_e64 s0, 0, v1
	s_and_b32 s0, s0, vcc_lo
	s_and_saveexec_b32 s1, s0
	s_cbranch_execz .LBB48_2
; %bb.1:
	v_ashrrev_i32_e32 v5, 31, v2
	v_mul_lo_u32 v6, s15, v2
	v_mad_u64_u32 v[3:4], null, s14, v2, 0
	s_lshl_b64 s[6:7], s[10:11], 2
	v_mul_lo_u32 v5, s14, v5
	s_waitcnt lgkmcnt(0)
	s_add_u32 s0, s8, s6
	s_addc_u32 s6, s9, s7
	v_add3_u32 v4, v4, v5, v6
	v_lshlrev_b64 v[3:4], 2, v[3:4]
	v_add_co_u32 v3, s0, s0, v3
	v_add_co_ci_u32_e64 v4, null, s6, v4, s0
	flat_load_dword v7, v[3:4]
.LBB48_2:
	s_or_b32 exec_lo, exec_lo, s1
	s_load_dword s13, s[4:5], 0x6c
	s_mov_b32 s19, exec_lo
	v_cmpx_gt_i32_e64 s18, v1
	s_cbranch_execz .LBB48_8
; %bb.3:
	s_load_dwordx2 s[6:7], s[4:5], 0x18
	v_mad_u64_u32 v[8:9], null, s14, v1, 0
	s_load_dwordx2 s[16:17], s[16:17], 0x0
	s_lshl_b64 s[0:1], s[10:11], 2
	s_waitcnt lgkmcnt(0)
	s_add_u32 s8, s8, s0
	s_addc_u32 s9, s9, s1
	s_lshl_b64 s[0:1], s[2:3], 2
	s_lshl_b64 s[2:3], s[14:15], 6
	v_mad_u64_u32 v[4:5], null, s6, v1, 0
	v_mov_b32_e32 v3, v5
	v_mad_u64_u32 v[5:6], null, s7, v1, v[3:4]
	v_mov_b32_e32 v3, v9
	s_lshl_b64 s[6:7], s[6:7], 6
	v_mad_u64_u32 v[9:10], null, s15, v1, v[3:4]
	v_ashrrev_i32_e32 v3, 31, v2
	v_lshlrev_b64 v[4:5], 2, v[4:5]
	v_lshlrev_b64 v[10:11], 2, v[2:3]
	v_add_co_u32 v6, s0, v4, s0
	v_add_co_ci_u32_e64 v5, null, s1, v5, s0
	v_lshlrev_b64 v[3:4], 2, v[8:9]
	v_add_co_u32 v6, s0, v6, v10
	v_add_co_ci_u32_e64 v8, null, v5, v11, s0
	v_add_co_u32 v3, s0, s8, v3
	v_add_co_ci_u32_e64 v4, null, s9, v4, s0
	;; [unrolled: 2-line block ×3, first 2 shown]
	v_mov_b32_e32 v8, v1
	s_mov_b32 s8, 0
	s_inst_prefetch 0x1
	s_branch .LBB48_5
	.p2align	6
.LBB48_4:                               ;   in Loop: Header=BB48_5 Depth=1
	s_or_b32 exec_lo, exec_lo, s1
	v_add_nc_u32_e32 v8, 16, v8
	v_add_co_u32 v3, s0, v3, s2
	v_add_co_ci_u32_e64 v4, null, s3, v4, s0
	v_cmp_le_i32_e64 s0, s18, v8
	v_add_co_u32 v5, s1, v5, s6
	v_add_co_ci_u32_e64 v6, null, s7, v6, s1
	s_or_b32 s8, s0, s8
	s_andn2_b32 exec_lo, exec_lo, s8
	s_cbranch_execz .LBB48_7
.LBB48_5:                               ; =>This Inner Loop Header: Depth=1
	s_mov_b32 s1, exec_lo
	v_cmpx_gt_i32_e64 v8, v2
	s_cbranch_execz .LBB48_4
; %bb.6:                                ;   in Loop: Header=BB48_5 Depth=1
	flat_load_dword v9, v[5:6]
	flat_load_dword v10, v[3:4]
	s_waitcnt vmcnt(0) lgkmcnt(0)
	v_fmac_f32_e32 v7, v9, v10
	s_branch .LBB48_4
.LBB48_7:
	s_inst_prefetch 0x2
	s_or_b32 exec_lo, exec_lo, s8
.LBB48_8:
	s_or_b32 exec_lo, exec_lo, s19
	v_lshlrev_b32_e32 v3, 2, v0
	s_waitcnt lgkmcnt(0)
	s_and_b32 s1, 0xffff, s13
	s_mov_b32 s2, exec_lo
	v_mad_u32_u24 v0, v1, s1, v0
	v_lshl_add_u32 v4, v1, 8, v3
	s_waitcnt vmcnt(0)
	ds_write_b32 v4, v7
	s_waitcnt lgkmcnt(0)
	s_barrier
	buffer_gl0_inv
	v_cmpx_gt_u32_e32 64, v0
	s_cbranch_execz .LBB48_11
; %bb.9:
	v_mul_u32_u24_e32 v0, s1, v1
	v_lshl_add_u32 v9, v0, 2, v3
	ds_read2st64_b32 v[0:1], v9 offset1:1
	ds_read2st64_b32 v[3:4], v9 offset0:2 offset1:3
	ds_read2st64_b32 v[5:6], v9 offset0:4 offset1:5
	;; [unrolled: 1-line block ×3, first 2 shown]
	s_waitcnt lgkmcnt(3)
	v_add_f32_e32 v0, v0, v1
	s_waitcnt lgkmcnt(2)
	v_add_f32_e32 v0, v3, v0
	v_add_f32_e32 v0, v4, v0
	s_waitcnt lgkmcnt(1)
	v_add_f32_e32 v3, v5, v0
	ds_read2st64_b32 v[0:1], v9 offset0:8 offset1:9
	v_add_f32_e32 v3, v6, v3
	s_waitcnt lgkmcnt(1)
	v_add_f32_e32 v5, v7, v3
	ds_read2st64_b32 v[3:4], v9 offset0:10 offset1:11
	v_add_f32_e32 v10, v8, v5
	ds_read2st64_b32 v[5:6], v9 offset0:12 offset1:13
	ds_read2st64_b32 v[7:8], v9 offset0:14 offset1:15
	s_waitcnt lgkmcnt(3)
	v_add_f32_e32 v0, v0, v10
	v_add_f32_e32 v0, v1, v0
	s_waitcnt lgkmcnt(2)
	v_add_f32_e32 v0, v3, v0
	v_add_f32_e32 v0, v4, v0
	;; [unrolled: 3-line block ×4, first 2 shown]
	ds_write_b32 v9, v0
	s_and_b32 exec_lo, exec_lo, vcc_lo
	s_cbranch_execz .LBB48_11
; %bb.10:
	s_load_dwordx4 s[0:3], s[4:5], 0x48
	v_ashrrev_i32_e32 v3, 31, v2
	v_lshlrev_b64 v[1:2], 2, v[2:3]
	s_waitcnt lgkmcnt(0)
	s_mul_i32 s3, s3, s12
	s_mul_hi_u32 s4, s2, s12
	s_mul_i32 s2, s2, s12
	s_add_i32 s3, s4, s3
	s_lshl_b64 s[2:3], s[2:3], 2
	s_add_u32 s0, s0, s2
	s_addc_u32 s1, s1, s3
	v_add_co_u32 v1, vcc_lo, s0, v1
	v_add_co_ci_u32_e64 v2, null, s1, v2, vcc_lo
	global_store_dword v[1:2], v0, off
.LBB48_11:
	s_endpgm
	.section	.rodata,"a",@progbits
	.p2align	6, 0x0
	.amdhsa_kernel _ZL20rocblas_trmvn_kernelILi64ELi16ELb0ELb1EPKPKfPKPfS4_EviT3_lllT4_lllT5_li
		.amdhsa_group_segment_fixed_size 4096
		.amdhsa_private_segment_fixed_size 0
		.amdhsa_kernarg_size 352
		.amdhsa_user_sgpr_count 6
		.amdhsa_user_sgpr_private_segment_buffer 1
		.amdhsa_user_sgpr_dispatch_ptr 0
		.amdhsa_user_sgpr_queue_ptr 0
		.amdhsa_user_sgpr_kernarg_segment_ptr 1
		.amdhsa_user_sgpr_dispatch_id 0
		.amdhsa_user_sgpr_flat_scratch_init 0
		.amdhsa_user_sgpr_private_segment_size 0
		.amdhsa_wavefront_size32 1
		.amdhsa_uses_dynamic_stack 0
		.amdhsa_system_sgpr_private_segment_wavefront_offset 0
		.amdhsa_system_sgpr_workgroup_id_x 1
		.amdhsa_system_sgpr_workgroup_id_y 0
		.amdhsa_system_sgpr_workgroup_id_z 1
		.amdhsa_system_sgpr_workgroup_info 0
		.amdhsa_system_vgpr_workitem_id 1
		.amdhsa_next_free_vgpr 12
		.amdhsa_next_free_sgpr 22
		.amdhsa_reserve_vcc 1
		.amdhsa_reserve_flat_scratch 0
		.amdhsa_float_round_mode_32 0
		.amdhsa_float_round_mode_16_64 0
		.amdhsa_float_denorm_mode_32 3
		.amdhsa_float_denorm_mode_16_64 3
		.amdhsa_dx10_clamp 1
		.amdhsa_ieee_mode 1
		.amdhsa_fp16_overflow 0
		.amdhsa_workgroup_processor_mode 1
		.amdhsa_memory_ordered 1
		.amdhsa_forward_progress 1
		.amdhsa_shared_vgpr_count 0
		.amdhsa_exception_fp_ieee_invalid_op 0
		.amdhsa_exception_fp_denorm_src 0
		.amdhsa_exception_fp_ieee_div_zero 0
		.amdhsa_exception_fp_ieee_overflow 0
		.amdhsa_exception_fp_ieee_underflow 0
		.amdhsa_exception_fp_ieee_inexact 0
		.amdhsa_exception_int_div_zero 0
	.end_amdhsa_kernel
	.section	.text._ZL20rocblas_trmvn_kernelILi64ELi16ELb0ELb1EPKPKfPKPfS4_EviT3_lllT4_lllT5_li,"axG",@progbits,_ZL20rocblas_trmvn_kernelILi64ELi16ELb0ELb1EPKPKfPKPfS4_EviT3_lllT4_lllT5_li,comdat
.Lfunc_end48:
	.size	_ZL20rocblas_trmvn_kernelILi64ELi16ELb0ELb1EPKPKfPKPfS4_EviT3_lllT4_lllT5_li, .Lfunc_end48-_ZL20rocblas_trmvn_kernelILi64ELi16ELb0ELb1EPKPKfPKPfS4_EviT3_lllT4_lllT5_li
                                        ; -- End function
	.set _ZL20rocblas_trmvn_kernelILi64ELi16ELb0ELb1EPKPKfPKPfS4_EviT3_lllT4_lllT5_li.num_vgpr, 12
	.set _ZL20rocblas_trmvn_kernelILi64ELi16ELb0ELb1EPKPKfPKPfS4_EviT3_lllT4_lllT5_li.num_agpr, 0
	.set _ZL20rocblas_trmvn_kernelILi64ELi16ELb0ELb1EPKPKfPKPfS4_EviT3_lllT4_lllT5_li.numbered_sgpr, 22
	.set _ZL20rocblas_trmvn_kernelILi64ELi16ELb0ELb1EPKPKfPKPfS4_EviT3_lllT4_lllT5_li.num_named_barrier, 0
	.set _ZL20rocblas_trmvn_kernelILi64ELi16ELb0ELb1EPKPKfPKPfS4_EviT3_lllT4_lllT5_li.private_seg_size, 0
	.set _ZL20rocblas_trmvn_kernelILi64ELi16ELb0ELb1EPKPKfPKPfS4_EviT3_lllT4_lllT5_li.uses_vcc, 1
	.set _ZL20rocblas_trmvn_kernelILi64ELi16ELb0ELb1EPKPKfPKPfS4_EviT3_lllT4_lllT5_li.uses_flat_scratch, 0
	.set _ZL20rocblas_trmvn_kernelILi64ELi16ELb0ELb1EPKPKfPKPfS4_EviT3_lllT4_lllT5_li.has_dyn_sized_stack, 0
	.set _ZL20rocblas_trmvn_kernelILi64ELi16ELb0ELb1EPKPKfPKPfS4_EviT3_lllT4_lllT5_li.has_recursion, 0
	.set _ZL20rocblas_trmvn_kernelILi64ELi16ELb0ELb1EPKPKfPKPfS4_EviT3_lllT4_lllT5_li.has_indirect_call, 0
	.section	.AMDGPU.csdata,"",@progbits
; Kernel info:
; codeLenInByte = 900
; TotalNumSgprs: 24
; NumVgprs: 12
; ScratchSize: 0
; MemoryBound: 0
; FloatMode: 240
; IeeeMode: 1
; LDSByteSize: 4096 bytes/workgroup (compile time only)
; SGPRBlocks: 0
; VGPRBlocks: 1
; NumSGPRsForWavesPerEU: 24
; NumVGPRsForWavesPerEU: 12
; Occupancy: 16
; WaveLimiterHint : 1
; COMPUTE_PGM_RSRC2:SCRATCH_EN: 0
; COMPUTE_PGM_RSRC2:USER_SGPR: 6
; COMPUTE_PGM_RSRC2:TRAP_HANDLER: 0
; COMPUTE_PGM_RSRC2:TGID_X_EN: 1
; COMPUTE_PGM_RSRC2:TGID_Y_EN: 0
; COMPUTE_PGM_RSRC2:TGID_Z_EN: 1
; COMPUTE_PGM_RSRC2:TIDIG_COMP_CNT: 1
	.section	.text._ZL20rocblas_trmvt_kernelILi512ELb0ELb0ELb1EPKPKfPKPfS4_EviT3_lllT4_lllT5_li,"axG",@progbits,_ZL20rocblas_trmvt_kernelILi512ELb0ELb0ELb1EPKPKfPKPfS4_EviT3_lllT4_lllT5_li,comdat
	.globl	_ZL20rocblas_trmvt_kernelILi512ELb0ELb0ELb1EPKPKfPKPfS4_EviT3_lllT4_lllT5_li ; -- Begin function _ZL20rocblas_trmvt_kernelILi512ELb0ELb0ELb1EPKPKfPKPfS4_EviT3_lllT4_lllT5_li
	.p2align	8
	.type	_ZL20rocblas_trmvt_kernelILi512ELb0ELb0ELb1EPKPKfPKPfS4_EviT3_lllT4_lllT5_li,@function
_ZL20rocblas_trmvt_kernelILi512ELb0ELb0ELb1EPKPKfPKPfS4_EviT3_lllT4_lllT5_li: ; @_ZL20rocblas_trmvt_kernelILi512ELb0ELb0ELb1EPKPKfPKPfS4_EviT3_lllT4_lllT5_li
; %bb.0:
	s_clause 0x1
	s_load_dwordx4 s[8:11], s[4:5], 0x8
	s_load_dwordx4 s[0:3], s[4:5], 0x28
	s_mov_b32 s12, s7
	s_mov_b32 s13, 0
	v_cmp_eq_u32_e32 vcc_lo, 0, v0
	s_lshl_b64 s[14:15], s[12:13], 3
	v_mov_b32_e32 v5, 0
	s_waitcnt lgkmcnt(0)
	s_add_u32 s16, s8, s14
	s_addc_u32 s17, s9, s15
	s_add_u32 s0, s0, s14
	s_addc_u32 s1, s1, s15
	s_load_dwordx2 s[8:9], s[4:5], 0x38
	s_load_dwordx2 s[14:15], s[0:1], 0x0
	s_ashr_i32 s7, s6, 31
	s_and_saveexec_b32 s0, vcc_lo
	s_cbranch_execz .LBB49_2
; %bb.1:
	s_lshl_b64 s[18:19], s[2:3], 2
	s_waitcnt lgkmcnt(0)
	s_mul_i32 s1, s8, s7
	s_add_u32 s13, s14, s18
	s_mul_hi_u32 s18, s8, s6
	s_addc_u32 s20, s15, s19
	s_add_i32 s1, s18, s1
	s_mul_i32 s18, s9, s6
	s_add_i32 s19, s1, s18
	s_mul_i32 s18, s8, s6
	s_lshl_b64 s[18:19], s[18:19], 2
	s_add_u32 s18, s13, s18
	s_addc_u32 s19, s20, s19
	v_mov_b32_e32 v1, s18
	v_mov_b32_e32 v2, s19
	flat_load_dword v1, v[1:2]
	s_waitcnt vmcnt(0) lgkmcnt(0)
	v_add_f32_e32 v5, 0, v1
.LBB49_2:
	s_or_b32 exec_lo, exec_lo, s0
	s_load_dword s18, s[4:5], 0x0
	s_waitcnt lgkmcnt(0)
	v_cmp_gt_i32_e64 s0, s18, v0
	s_and_saveexec_b32 s13, s0
	s_cbranch_execz .LBB49_8
; %bb.3:
	s_load_dwordx2 s[16:17], s[16:17], 0x0
	s_load_dwordx2 s[20:21], s[4:5], 0x18
	v_mad_u64_u32 v[1:2], null, s8, v0, 0
	v_cndmask_b32_e64 v4, 0, v0, s0
	s_lshl_b64 s[0:1], s[10:11], 2
	v_mad_u64_u32 v[2:3], null, s9, v0, v[2:3]
	v_lshlrev_b32_e32 v3, 2, v4
	s_waitcnt lgkmcnt(0)
	s_add_u32 s10, s16, s0
	s_mul_i32 s11, s20, s7
	s_mul_hi_u32 s16, s20, s6
	s_mul_i32 s19, s21, s6
	s_addc_u32 s17, s17, s1
	s_add_i32 s1, s16, s11
	v_add_co_u32 v6, s10, s10, v3
	s_mul_i32 s0, s20, s6
	s_add_i32 s1, s1, s19
	v_add_co_ci_u32_e64 v7, null, s17, 0, s10
	s_lshl_b64 s[0:1], s[0:1], 2
	v_lshlrev_b64 v[3:4], 2, v[1:2]
	s_lshl_b64 s[2:3], s[2:3], 2
	v_add_co_u32 v1, s0, v6, s0
	v_add_co_ci_u32_e64 v2, null, s1, v7, s0
	s_add_u32 s0, s14, s2
	s_addc_u32 s1, s15, s3
	v_add_co_u32 v3, s0, s0, v3
	v_add_co_ci_u32_e64 v4, null, s1, v4, s0
	v_mov_b32_e32 v6, v0
	s_mov_b32 s10, 0
	s_lshl_b64 s[2:3], s[8:9], 11
	s_inst_prefetch 0x1
	s_branch .LBB49_5
	.p2align	6
.LBB49_4:                               ;   in Loop: Header=BB49_5 Depth=1
	s_or_b32 exec_lo, exec_lo, s1
	v_add_nc_u32_e32 v6, 0x200, v6
	v_add_co_u32 v1, s0, 0x800, v1
	v_add_co_ci_u32_e64 v2, null, 0, v2, s0
	v_cmp_le_i32_e64 s0, s18, v6
	v_add_co_u32 v3, s1, v3, s2
	v_add_co_ci_u32_e64 v4, null, s3, v4, s1
	s_or_b32 s10, s0, s10
	s_andn2_b32 exec_lo, exec_lo, s10
	s_cbranch_execz .LBB49_7
.LBB49_5:                               ; =>This Inner Loop Header: Depth=1
	s_mov_b32 s1, exec_lo
	v_cmpx_gt_i32_e64 s6, v6
	s_cbranch_execz .LBB49_4
; %bb.6:                                ;   in Loop: Header=BB49_5 Depth=1
	flat_load_dword v7, v[1:2]
	flat_load_dword v8, v[3:4]
	s_waitcnt vmcnt(0) lgkmcnt(0)
	v_fmac_f32_e32 v5, v7, v8
	s_branch .LBB49_4
.LBB49_7:
	s_inst_prefetch 0x2
	s_or_b32 exec_lo, exec_lo, s10
.LBB49_8:
	s_or_b32 exec_lo, exec_lo, s13
	v_and_b32_e32 v6, 31, v0
	v_cmp_gt_u32_e64 s0, 32, v0
	v_lshlrev_b32_e32 v1, 2, v6
	s_and_saveexec_b32 s1, s0
; %bb.9:
	v_mov_b32_e32 v2, 0
	ds_write_b32 v1, v2
; %bb.10:
	s_or_b32 exec_lo, exec_lo, s1
	v_mbcnt_lo_u32_b32 v7, -1, 0
	s_mov_b32 s2, exec_lo
	s_waitcnt lgkmcnt(0)
	s_barrier
	buffer_gl0_inv
	v_lshl_or_b32 v2, v7, 2, 64
	v_cmp_gt_u32_e64 s1, 24, v7
	ds_bpermute_b32 v3, v2, v5
	v_cndmask_b32_e64 v2, 0, 8, s1
	v_cmp_gt_u32_e64 s1, 28, v7
	v_add_lshl_u32 v2, v2, v7, 2
	s_waitcnt lgkmcnt(0)
	v_add_f32_e32 v4, v5, v3
	v_cndmask_b32_e64 v3, 0, 4, s1
	v_cmp_gt_u32_e64 s1, 30, v7
	ds_bpermute_b32 v5, v2, v4
	v_add_lshl_u32 v3, v3, v7, 2
	s_waitcnt lgkmcnt(0)
	v_add_f32_e32 v5, v4, v5
	v_cndmask_b32_e64 v4, 0, 2, s1
	v_cmp_ne_u32_e64 s1, 31, v7
	ds_bpermute_b32 v8, v3, v5
	v_add_lshl_u32 v4, v4, v7, 2
	v_add_co_ci_u32_e64 v9, null, 0, v7, s1
	s_waitcnt lgkmcnt(0)
	v_add_f32_e32 v5, v5, v8
	ds_bpermute_b32 v8, v4, v5
	s_waitcnt lgkmcnt(0)
	v_add_f32_e32 v7, v5, v8
	v_lshlrev_b32_e32 v5, 2, v9
	ds_bpermute_b32 v8, v5, v7
	v_cmpx_eq_u32_e32 0, v6
	s_cbranch_execz .LBB49_12
; %bb.11:
	v_lshrrev_b32_e32 v6, 3, v0
	s_waitcnt lgkmcnt(0)
	v_add_f32_e32 v7, v7, v8
	v_and_b32_e32 v6, 60, v6
	ds_write_b32 v6, v7
.LBB49_12:
	s_or_b32 exec_lo, exec_lo, s2
	v_cmp_gt_u32_e64 s1, 16, v0
	v_mov_b32_e32 v0, 0
	s_waitcnt lgkmcnt(0)
	s_barrier
	buffer_gl0_inv
	s_and_saveexec_b32 s2, s1
	s_cbranch_execnz .LBB49_16
; %bb.13:
	s_or_b32 exec_lo, exec_lo, s2
	s_and_saveexec_b32 s1, s0
	s_cbranch_execnz .LBB49_17
.LBB49_14:
	s_or_b32 exec_lo, exec_lo, s1
	s_and_saveexec_b32 s0, vcc_lo
	s_cbranch_execnz .LBB49_18
.LBB49_15:
	s_endpgm
.LBB49_16:
	ds_read_b32 v0, v1
	s_or_b32 exec_lo, exec_lo, s2
	s_and_saveexec_b32 s1, s0
	s_cbranch_execz .LBB49_14
.LBB49_17:
	s_waitcnt lgkmcnt(0)
	ds_bpermute_b32 v1, v2, v0
	s_waitcnt lgkmcnt(0)
	v_add_f32_e32 v0, v0, v1
	ds_bpermute_b32 v1, v3, v0
	s_waitcnt lgkmcnt(0)
	v_add_f32_e32 v0, v0, v1
	;; [unrolled: 3-line block ×4, first 2 shown]
	s_or_b32 exec_lo, exec_lo, s1
	s_and_saveexec_b32 s0, vcc_lo
	s_cbranch_execz .LBB49_15
.LBB49_18:
	s_load_dwordx4 s[0:3], s[4:5], 0x48
	v_mov_b32_e32 v1, 0
	s_waitcnt lgkmcnt(0)
	s_mul_i32 s3, s3, s12
	s_mul_hi_u32 s4, s2, s12
	s_mul_i32 s2, s2, s12
	s_add_i32 s3, s4, s3
	s_lshl_b64 s[2:3], s[2:3], 2
	s_add_u32 s2, s0, s2
	s_addc_u32 s3, s1, s3
	s_lshl_b64 s[0:1], s[6:7], 2
	s_add_u32 s0, s2, s0
	s_addc_u32 s1, s3, s1
	global_store_dword v1, v0, s[0:1]
	s_endpgm
	.section	.rodata,"a",@progbits
	.p2align	6, 0x0
	.amdhsa_kernel _ZL20rocblas_trmvt_kernelILi512ELb0ELb0ELb1EPKPKfPKPfS4_EviT3_lllT4_lllT5_li
		.amdhsa_group_segment_fixed_size 128
		.amdhsa_private_segment_fixed_size 0
		.amdhsa_kernarg_size 92
		.amdhsa_user_sgpr_count 6
		.amdhsa_user_sgpr_private_segment_buffer 1
		.amdhsa_user_sgpr_dispatch_ptr 0
		.amdhsa_user_sgpr_queue_ptr 0
		.amdhsa_user_sgpr_kernarg_segment_ptr 1
		.amdhsa_user_sgpr_dispatch_id 0
		.amdhsa_user_sgpr_flat_scratch_init 0
		.amdhsa_user_sgpr_private_segment_size 0
		.amdhsa_wavefront_size32 1
		.amdhsa_uses_dynamic_stack 0
		.amdhsa_system_sgpr_private_segment_wavefront_offset 0
		.amdhsa_system_sgpr_workgroup_id_x 1
		.amdhsa_system_sgpr_workgroup_id_y 0
		.amdhsa_system_sgpr_workgroup_id_z 1
		.amdhsa_system_sgpr_workgroup_info 0
		.amdhsa_system_vgpr_workitem_id 0
		.amdhsa_next_free_vgpr 10
		.amdhsa_next_free_sgpr 22
		.amdhsa_reserve_vcc 1
		.amdhsa_reserve_flat_scratch 0
		.amdhsa_float_round_mode_32 0
		.amdhsa_float_round_mode_16_64 0
		.amdhsa_float_denorm_mode_32 3
		.amdhsa_float_denorm_mode_16_64 3
		.amdhsa_dx10_clamp 1
		.amdhsa_ieee_mode 1
		.amdhsa_fp16_overflow 0
		.amdhsa_workgroup_processor_mode 1
		.amdhsa_memory_ordered 1
		.amdhsa_forward_progress 1
		.amdhsa_shared_vgpr_count 0
		.amdhsa_exception_fp_ieee_invalid_op 0
		.amdhsa_exception_fp_denorm_src 0
		.amdhsa_exception_fp_ieee_div_zero 0
		.amdhsa_exception_fp_ieee_overflow 0
		.amdhsa_exception_fp_ieee_underflow 0
		.amdhsa_exception_fp_ieee_inexact 0
		.amdhsa_exception_int_div_zero 0
	.end_amdhsa_kernel
	.section	.text._ZL20rocblas_trmvt_kernelILi512ELb0ELb0ELb1EPKPKfPKPfS4_EviT3_lllT4_lllT5_li,"axG",@progbits,_ZL20rocblas_trmvt_kernelILi512ELb0ELb0ELb1EPKPKfPKPfS4_EviT3_lllT4_lllT5_li,comdat
.Lfunc_end49:
	.size	_ZL20rocblas_trmvt_kernelILi512ELb0ELb0ELb1EPKPKfPKPfS4_EviT3_lllT4_lllT5_li, .Lfunc_end49-_ZL20rocblas_trmvt_kernelILi512ELb0ELb0ELb1EPKPKfPKPfS4_EviT3_lllT4_lllT5_li
                                        ; -- End function
	.set _ZL20rocblas_trmvt_kernelILi512ELb0ELb0ELb1EPKPKfPKPfS4_EviT3_lllT4_lllT5_li.num_vgpr, 10
	.set _ZL20rocblas_trmvt_kernelILi512ELb0ELb0ELb1EPKPKfPKPfS4_EviT3_lllT4_lllT5_li.num_agpr, 0
	.set _ZL20rocblas_trmvt_kernelILi512ELb0ELb0ELb1EPKPKfPKPfS4_EviT3_lllT4_lllT5_li.numbered_sgpr, 22
	.set _ZL20rocblas_trmvt_kernelILi512ELb0ELb0ELb1EPKPKfPKPfS4_EviT3_lllT4_lllT5_li.num_named_barrier, 0
	.set _ZL20rocblas_trmvt_kernelILi512ELb0ELb0ELb1EPKPKfPKPfS4_EviT3_lllT4_lllT5_li.private_seg_size, 0
	.set _ZL20rocblas_trmvt_kernelILi512ELb0ELb0ELb1EPKPKfPKPfS4_EviT3_lllT4_lllT5_li.uses_vcc, 1
	.set _ZL20rocblas_trmvt_kernelILi512ELb0ELb0ELb1EPKPKfPKPfS4_EviT3_lllT4_lllT5_li.uses_flat_scratch, 0
	.set _ZL20rocblas_trmvt_kernelILi512ELb0ELb0ELb1EPKPKfPKPfS4_EviT3_lllT4_lllT5_li.has_dyn_sized_stack, 0
	.set _ZL20rocblas_trmvt_kernelILi512ELb0ELb0ELb1EPKPKfPKPfS4_EviT3_lllT4_lllT5_li.has_recursion, 0
	.set _ZL20rocblas_trmvt_kernelILi512ELb0ELb0ELb1EPKPKfPKPfS4_EviT3_lllT4_lllT5_li.has_indirect_call, 0
	.section	.AMDGPU.csdata,"",@progbits
; Kernel info:
; codeLenInByte = 1012
; TotalNumSgprs: 24
; NumVgprs: 10
; ScratchSize: 0
; MemoryBound: 0
; FloatMode: 240
; IeeeMode: 1
; LDSByteSize: 128 bytes/workgroup (compile time only)
; SGPRBlocks: 0
; VGPRBlocks: 1
; NumSGPRsForWavesPerEU: 24
; NumVGPRsForWavesPerEU: 10
; Occupancy: 16
; WaveLimiterHint : 1
; COMPUTE_PGM_RSRC2:SCRATCH_EN: 0
; COMPUTE_PGM_RSRC2:USER_SGPR: 6
; COMPUTE_PGM_RSRC2:TRAP_HANDLER: 0
; COMPUTE_PGM_RSRC2:TGID_X_EN: 1
; COMPUTE_PGM_RSRC2:TGID_Y_EN: 0
; COMPUTE_PGM_RSRC2:TGID_Z_EN: 1
; COMPUTE_PGM_RSRC2:TIDIG_COMP_CNT: 0
	.section	.text._ZL20rocblas_trmvt_kernelILi512ELb0ELb1ELb1EPKPKfPKPfS4_EviT3_lllT4_lllT5_li,"axG",@progbits,_ZL20rocblas_trmvt_kernelILi512ELb0ELb1ELb1EPKPKfPKPfS4_EviT3_lllT4_lllT5_li,comdat
	.globl	_ZL20rocblas_trmvt_kernelILi512ELb0ELb1ELb1EPKPKfPKPfS4_EviT3_lllT4_lllT5_li ; -- Begin function _ZL20rocblas_trmvt_kernelILi512ELb0ELb1ELb1EPKPKfPKPfS4_EviT3_lllT4_lllT5_li
	.p2align	8
	.type	_ZL20rocblas_trmvt_kernelILi512ELb0ELb1ELb1EPKPKfPKPfS4_EviT3_lllT4_lllT5_li,@function
_ZL20rocblas_trmvt_kernelILi512ELb0ELb1ELb1EPKPKfPKPfS4_EviT3_lllT4_lllT5_li: ; @_ZL20rocblas_trmvt_kernelILi512ELb0ELb1ELb1EPKPKfPKPfS4_EviT3_lllT4_lllT5_li
; %bb.0:
	s_clause 0x1
	s_load_dwordx4 s[8:11], s[4:5], 0x8
	s_load_dwordx4 s[0:3], s[4:5], 0x28
	s_mov_b32 s12, s7
	s_mov_b32 s13, 0
	v_cmp_eq_u32_e32 vcc_lo, 0, v0
	s_lshl_b64 s[14:15], s[12:13], 3
	v_mov_b32_e32 v5, 0
	s_waitcnt lgkmcnt(0)
	s_add_u32 s16, s8, s14
	s_addc_u32 s17, s9, s15
	s_add_u32 s0, s0, s14
	s_addc_u32 s1, s1, s15
	s_load_dwordx2 s[8:9], s[4:5], 0x38
	s_load_dwordx2 s[14:15], s[0:1], 0x0
	s_ashr_i32 s7, s6, 31
	s_and_saveexec_b32 s0, vcc_lo
	s_cbranch_execz .LBB50_2
; %bb.1:
	s_lshl_b64 s[18:19], s[2:3], 2
	s_waitcnt lgkmcnt(0)
	s_mul_i32 s1, s8, s7
	s_add_u32 s13, s14, s18
	s_mul_hi_u32 s18, s8, s6
	s_addc_u32 s20, s15, s19
	s_add_i32 s1, s18, s1
	s_mul_i32 s18, s9, s6
	s_add_i32 s19, s1, s18
	s_mul_i32 s18, s8, s6
	s_lshl_b64 s[18:19], s[18:19], 2
	s_add_u32 s18, s13, s18
	s_addc_u32 s19, s20, s19
	v_mov_b32_e32 v1, s18
	v_mov_b32_e32 v2, s19
	flat_load_dword v1, v[1:2]
	s_waitcnt vmcnt(0) lgkmcnt(0)
	v_add_f32_e32 v5, 0, v1
.LBB50_2:
	s_or_b32 exec_lo, exec_lo, s0
	s_load_dword s18, s[4:5], 0x0
	s_waitcnt lgkmcnt(0)
	v_cmp_gt_i32_e64 s0, s18, v0
	s_and_saveexec_b32 s13, s0
	s_cbranch_execz .LBB50_8
; %bb.3:
	s_load_dwordx2 s[16:17], s[16:17], 0x0
	s_load_dwordx2 s[20:21], s[4:5], 0x18
	v_mad_u64_u32 v[1:2], null, s8, v0, 0
	v_cndmask_b32_e64 v4, 0, v0, s0
	s_lshl_b64 s[0:1], s[10:11], 2
	v_mad_u64_u32 v[2:3], null, s9, v0, v[2:3]
	v_lshlrev_b32_e32 v3, 2, v4
	s_waitcnt lgkmcnt(0)
	s_add_u32 s10, s16, s0
	s_mul_i32 s11, s20, s7
	s_mul_hi_u32 s16, s20, s6
	s_mul_i32 s19, s21, s6
	s_addc_u32 s17, s17, s1
	s_add_i32 s1, s16, s11
	v_add_co_u32 v6, s10, s10, v3
	s_mul_i32 s0, s20, s6
	s_add_i32 s1, s1, s19
	v_add_co_ci_u32_e64 v7, null, s17, 0, s10
	s_lshl_b64 s[0:1], s[0:1], 2
	v_lshlrev_b64 v[3:4], 2, v[1:2]
	s_lshl_b64 s[2:3], s[2:3], 2
	v_add_co_u32 v1, s0, v6, s0
	v_add_co_ci_u32_e64 v2, null, s1, v7, s0
	s_add_u32 s0, s14, s2
	s_addc_u32 s1, s15, s3
	v_add_co_u32 v3, s0, s0, v3
	v_add_co_ci_u32_e64 v4, null, s1, v4, s0
	v_mov_b32_e32 v6, v0
	s_mov_b32 s10, 0
	s_lshl_b64 s[2:3], s[8:9], 11
	s_inst_prefetch 0x1
	s_branch .LBB50_5
	.p2align	6
.LBB50_4:                               ;   in Loop: Header=BB50_5 Depth=1
	s_or_b32 exec_lo, exec_lo, s1
	v_add_nc_u32_e32 v6, 0x200, v6
	v_add_co_u32 v1, s0, 0x800, v1
	v_add_co_ci_u32_e64 v2, null, 0, v2, s0
	v_cmp_le_i32_e64 s0, s18, v6
	v_add_co_u32 v3, s1, v3, s2
	v_add_co_ci_u32_e64 v4, null, s3, v4, s1
	s_or_b32 s10, s0, s10
	s_andn2_b32 exec_lo, exec_lo, s10
	s_cbranch_execz .LBB50_7
.LBB50_5:                               ; =>This Inner Loop Header: Depth=1
	s_mov_b32 s1, exec_lo
	v_cmpx_gt_i32_e64 s6, v6
	s_cbranch_execz .LBB50_4
; %bb.6:                                ;   in Loop: Header=BB50_5 Depth=1
	flat_load_dword v7, v[1:2]
	flat_load_dword v8, v[3:4]
	s_waitcnt vmcnt(0) lgkmcnt(0)
	v_fmac_f32_e32 v5, v7, v8
	s_branch .LBB50_4
.LBB50_7:
	s_inst_prefetch 0x2
	s_or_b32 exec_lo, exec_lo, s10
.LBB50_8:
	s_or_b32 exec_lo, exec_lo, s13
	v_and_b32_e32 v6, 31, v0
	v_cmp_gt_u32_e64 s0, 32, v0
	v_lshlrev_b32_e32 v1, 2, v6
	s_and_saveexec_b32 s1, s0
; %bb.9:
	v_mov_b32_e32 v2, 0
	ds_write_b32 v1, v2
; %bb.10:
	s_or_b32 exec_lo, exec_lo, s1
	v_mbcnt_lo_u32_b32 v7, -1, 0
	s_mov_b32 s2, exec_lo
	s_waitcnt lgkmcnt(0)
	s_barrier
	buffer_gl0_inv
	v_lshl_or_b32 v2, v7, 2, 64
	v_cmp_gt_u32_e64 s1, 24, v7
	ds_bpermute_b32 v3, v2, v5
	v_cndmask_b32_e64 v2, 0, 8, s1
	v_cmp_gt_u32_e64 s1, 28, v7
	v_add_lshl_u32 v2, v2, v7, 2
	s_waitcnt lgkmcnt(0)
	v_add_f32_e32 v4, v5, v3
	v_cndmask_b32_e64 v3, 0, 4, s1
	v_cmp_gt_u32_e64 s1, 30, v7
	ds_bpermute_b32 v5, v2, v4
	v_add_lshl_u32 v3, v3, v7, 2
	s_waitcnt lgkmcnt(0)
	v_add_f32_e32 v5, v4, v5
	v_cndmask_b32_e64 v4, 0, 2, s1
	v_cmp_ne_u32_e64 s1, 31, v7
	ds_bpermute_b32 v8, v3, v5
	v_add_lshl_u32 v4, v4, v7, 2
	v_add_co_ci_u32_e64 v9, null, 0, v7, s1
	s_waitcnt lgkmcnt(0)
	v_add_f32_e32 v5, v5, v8
	ds_bpermute_b32 v8, v4, v5
	s_waitcnt lgkmcnt(0)
	v_add_f32_e32 v7, v5, v8
	v_lshlrev_b32_e32 v5, 2, v9
	ds_bpermute_b32 v8, v5, v7
	v_cmpx_eq_u32_e32 0, v6
	s_cbranch_execz .LBB50_12
; %bb.11:
	v_lshrrev_b32_e32 v6, 3, v0
	s_waitcnt lgkmcnt(0)
	v_add_f32_e32 v7, v7, v8
	v_and_b32_e32 v6, 60, v6
	ds_write_b32 v6, v7
.LBB50_12:
	s_or_b32 exec_lo, exec_lo, s2
	v_cmp_gt_u32_e64 s1, 16, v0
	v_mov_b32_e32 v0, 0
	s_waitcnt lgkmcnt(0)
	s_barrier
	buffer_gl0_inv
	s_and_saveexec_b32 s2, s1
	s_cbranch_execnz .LBB50_16
; %bb.13:
	s_or_b32 exec_lo, exec_lo, s2
	s_and_saveexec_b32 s1, s0
	s_cbranch_execnz .LBB50_17
.LBB50_14:
	s_or_b32 exec_lo, exec_lo, s1
	s_and_saveexec_b32 s0, vcc_lo
	s_cbranch_execnz .LBB50_18
.LBB50_15:
	s_endpgm
.LBB50_16:
	ds_read_b32 v0, v1
	s_or_b32 exec_lo, exec_lo, s2
	s_and_saveexec_b32 s1, s0
	s_cbranch_execz .LBB50_14
.LBB50_17:
	s_waitcnt lgkmcnt(0)
	ds_bpermute_b32 v1, v2, v0
	s_waitcnt lgkmcnt(0)
	v_add_f32_e32 v0, v0, v1
	ds_bpermute_b32 v1, v3, v0
	s_waitcnt lgkmcnt(0)
	v_add_f32_e32 v0, v0, v1
	;; [unrolled: 3-line block ×4, first 2 shown]
	s_or_b32 exec_lo, exec_lo, s1
	s_and_saveexec_b32 s0, vcc_lo
	s_cbranch_execz .LBB50_15
.LBB50_18:
	s_load_dwordx4 s[0:3], s[4:5], 0x48
	v_mov_b32_e32 v1, 0
	s_waitcnt lgkmcnt(0)
	s_mul_i32 s3, s3, s12
	s_mul_hi_u32 s4, s2, s12
	s_mul_i32 s2, s2, s12
	s_add_i32 s3, s4, s3
	s_lshl_b64 s[2:3], s[2:3], 2
	s_add_u32 s2, s0, s2
	s_addc_u32 s3, s1, s3
	s_lshl_b64 s[0:1], s[6:7], 2
	s_add_u32 s0, s2, s0
	s_addc_u32 s1, s3, s1
	global_store_dword v1, v0, s[0:1]
	s_endpgm
	.section	.rodata,"a",@progbits
	.p2align	6, 0x0
	.amdhsa_kernel _ZL20rocblas_trmvt_kernelILi512ELb0ELb1ELb1EPKPKfPKPfS4_EviT3_lllT4_lllT5_li
		.amdhsa_group_segment_fixed_size 128
		.amdhsa_private_segment_fixed_size 0
		.amdhsa_kernarg_size 92
		.amdhsa_user_sgpr_count 6
		.amdhsa_user_sgpr_private_segment_buffer 1
		.amdhsa_user_sgpr_dispatch_ptr 0
		.amdhsa_user_sgpr_queue_ptr 0
		.amdhsa_user_sgpr_kernarg_segment_ptr 1
		.amdhsa_user_sgpr_dispatch_id 0
		.amdhsa_user_sgpr_flat_scratch_init 0
		.amdhsa_user_sgpr_private_segment_size 0
		.amdhsa_wavefront_size32 1
		.amdhsa_uses_dynamic_stack 0
		.amdhsa_system_sgpr_private_segment_wavefront_offset 0
		.amdhsa_system_sgpr_workgroup_id_x 1
		.amdhsa_system_sgpr_workgroup_id_y 0
		.amdhsa_system_sgpr_workgroup_id_z 1
		.amdhsa_system_sgpr_workgroup_info 0
		.amdhsa_system_vgpr_workitem_id 0
		.amdhsa_next_free_vgpr 10
		.amdhsa_next_free_sgpr 22
		.amdhsa_reserve_vcc 1
		.amdhsa_reserve_flat_scratch 0
		.amdhsa_float_round_mode_32 0
		.amdhsa_float_round_mode_16_64 0
		.amdhsa_float_denorm_mode_32 3
		.amdhsa_float_denorm_mode_16_64 3
		.amdhsa_dx10_clamp 1
		.amdhsa_ieee_mode 1
		.amdhsa_fp16_overflow 0
		.amdhsa_workgroup_processor_mode 1
		.amdhsa_memory_ordered 1
		.amdhsa_forward_progress 1
		.amdhsa_shared_vgpr_count 0
		.amdhsa_exception_fp_ieee_invalid_op 0
		.amdhsa_exception_fp_denorm_src 0
		.amdhsa_exception_fp_ieee_div_zero 0
		.amdhsa_exception_fp_ieee_overflow 0
		.amdhsa_exception_fp_ieee_underflow 0
		.amdhsa_exception_fp_ieee_inexact 0
		.amdhsa_exception_int_div_zero 0
	.end_amdhsa_kernel
	.section	.text._ZL20rocblas_trmvt_kernelILi512ELb0ELb1ELb1EPKPKfPKPfS4_EviT3_lllT4_lllT5_li,"axG",@progbits,_ZL20rocblas_trmvt_kernelILi512ELb0ELb1ELb1EPKPKfPKPfS4_EviT3_lllT4_lllT5_li,comdat
.Lfunc_end50:
	.size	_ZL20rocblas_trmvt_kernelILi512ELb0ELb1ELb1EPKPKfPKPfS4_EviT3_lllT4_lllT5_li, .Lfunc_end50-_ZL20rocblas_trmvt_kernelILi512ELb0ELb1ELb1EPKPKfPKPfS4_EviT3_lllT4_lllT5_li
                                        ; -- End function
	.set _ZL20rocblas_trmvt_kernelILi512ELb0ELb1ELb1EPKPKfPKPfS4_EviT3_lllT4_lllT5_li.num_vgpr, 10
	.set _ZL20rocblas_trmvt_kernelILi512ELb0ELb1ELb1EPKPKfPKPfS4_EviT3_lllT4_lllT5_li.num_agpr, 0
	.set _ZL20rocblas_trmvt_kernelILi512ELb0ELb1ELb1EPKPKfPKPfS4_EviT3_lllT4_lllT5_li.numbered_sgpr, 22
	.set _ZL20rocblas_trmvt_kernelILi512ELb0ELb1ELb1EPKPKfPKPfS4_EviT3_lllT4_lllT5_li.num_named_barrier, 0
	.set _ZL20rocblas_trmvt_kernelILi512ELb0ELb1ELb1EPKPKfPKPfS4_EviT3_lllT4_lllT5_li.private_seg_size, 0
	.set _ZL20rocblas_trmvt_kernelILi512ELb0ELb1ELb1EPKPKfPKPfS4_EviT3_lllT4_lllT5_li.uses_vcc, 1
	.set _ZL20rocblas_trmvt_kernelILi512ELb0ELb1ELb1EPKPKfPKPfS4_EviT3_lllT4_lllT5_li.uses_flat_scratch, 0
	.set _ZL20rocblas_trmvt_kernelILi512ELb0ELb1ELb1EPKPKfPKPfS4_EviT3_lllT4_lllT5_li.has_dyn_sized_stack, 0
	.set _ZL20rocblas_trmvt_kernelILi512ELb0ELb1ELb1EPKPKfPKPfS4_EviT3_lllT4_lllT5_li.has_recursion, 0
	.set _ZL20rocblas_trmvt_kernelILi512ELb0ELb1ELb1EPKPKfPKPfS4_EviT3_lllT4_lllT5_li.has_indirect_call, 0
	.section	.AMDGPU.csdata,"",@progbits
; Kernel info:
; codeLenInByte = 1012
; TotalNumSgprs: 24
; NumVgprs: 10
; ScratchSize: 0
; MemoryBound: 0
; FloatMode: 240
; IeeeMode: 1
; LDSByteSize: 128 bytes/workgroup (compile time only)
; SGPRBlocks: 0
; VGPRBlocks: 1
; NumSGPRsForWavesPerEU: 24
; NumVGPRsForWavesPerEU: 10
; Occupancy: 16
; WaveLimiterHint : 1
; COMPUTE_PGM_RSRC2:SCRATCH_EN: 0
; COMPUTE_PGM_RSRC2:USER_SGPR: 6
; COMPUTE_PGM_RSRC2:TRAP_HANDLER: 0
; COMPUTE_PGM_RSRC2:TGID_X_EN: 1
; COMPUTE_PGM_RSRC2:TGID_Y_EN: 0
; COMPUTE_PGM_RSRC2:TGID_Z_EN: 1
; COMPUTE_PGM_RSRC2:TIDIG_COMP_CNT: 0
	.section	.text._ZL20rocblas_trmvn_kernelILi64ELi16ELb0ELb0EPKPKfPKPfS4_EviT3_lllT4_lllT5_li,"axG",@progbits,_ZL20rocblas_trmvn_kernelILi64ELi16ELb0ELb0EPKPKfPKPfS4_EviT3_lllT4_lllT5_li,comdat
	.globl	_ZL20rocblas_trmvn_kernelILi64ELi16ELb0ELb0EPKPKfPKPfS4_EviT3_lllT4_lllT5_li ; -- Begin function _ZL20rocblas_trmvn_kernelILi64ELi16ELb0ELb0EPKPKfPKPfS4_EviT3_lllT4_lllT5_li
	.p2align	8
	.type	_ZL20rocblas_trmvn_kernelILi64ELi16ELb0ELb0EPKPKfPKPfS4_EviT3_lllT4_lllT5_li,@function
_ZL20rocblas_trmvn_kernelILi64ELi16ELb0ELb0EPKPKfPKPfS4_EviT3_lllT4_lllT5_li: ; @_ZL20rocblas_trmvn_kernelILi64ELi16ELb0ELb0EPKPKfPKPfS4_EviT3_lllT4_lllT5_li
; %bb.0:
	s_clause 0x2
	s_load_dwordx4 s[0:3], s[4:5], 0x8
	s_load_dwordx4 s[8:11], s[4:5], 0x28
	s_load_dword s20, s[4:5], 0x0
	s_mov_b32 s12, s7
	s_mov_b32 s13, 0
	s_clause 0x1
	s_load_dwordx2 s[14:15], s[4:5], 0x18
	s_load_dwordx2 s[16:17], s[4:5], 0x38
	s_lshl_b64 s[18:19], s[12:13], 3
	v_lshl_add_u32 v2, s6, 6, v0
	v_mov_b32_e32 v7, 0
	s_waitcnt lgkmcnt(0)
	s_add_u32 s0, s0, s18
	s_addc_u32 s1, s1, s19
	s_add_u32 s18, s8, s18
	s_addc_u32 s19, s9, s19
	s_load_dwordx2 s[8:9], s[0:1], 0x0
	s_load_dwordx2 s[18:19], s[18:19], 0x0
	v_cmp_eq_u32_e64 s0, 0, v1
	v_cmp_gt_i32_e32 vcc_lo, s20, v2
	s_and_b32 s0, s0, vcc_lo
	s_and_saveexec_b32 s1, s0
	s_cbranch_execz .LBB51_2
; %bb.1:
	v_ashrrev_i32_e32 v3, 31, v2
	v_mul_lo_u32 v8, v2, s15
	v_mul_lo_u32 v10, s17, v2
	v_mad_u64_u32 v[6:7], null, s16, v2, 0
	v_mul_lo_u32 v9, v3, s14
	v_mad_u64_u32 v[4:5], null, v2, s14, v[2:3]
	v_mul_lo_u32 v3, s16, v3
	s_lshl_b64 s[6:7], s[2:3], 2
	s_waitcnt lgkmcnt(0)
	s_add_u32 s0, s8, s6
	s_addc_u32 s13, s9, s7
	s_lshl_b64 s[6:7], s[10:11], 2
	v_add3_u32 v5, v9, v5, v8
	s_add_u32 s6, s18, s6
	v_add3_u32 v7, v7, v3, v10
	s_addc_u32 s7, s19, s7
	v_lshlrev_b64 v[3:4], 2, v[4:5]
	v_lshlrev_b64 v[5:6], 2, v[6:7]
	v_add_co_u32 v3, s0, s0, v3
	v_add_co_ci_u32_e64 v4, null, s13, v4, s0
	v_add_co_u32 v5, s0, s6, v5
	v_add_co_ci_u32_e64 v6, null, s7, v6, s0
	flat_load_dword v3, v[3:4]
	flat_load_dword v4, v[5:6]
	s_waitcnt vmcnt(0) lgkmcnt(0)
	v_mul_f32_e32 v7, v3, v4
.LBB51_2:
	s_or_b32 exec_lo, exec_lo, s1
	s_load_dword s13, s[4:5], 0x6c
	s_mov_b32 s21, exec_lo
	v_cmpx_gt_i32_e64 s20, v1
	s_cbranch_execz .LBB51_8
; %bb.3:
	v_mad_u64_u32 v[4:5], null, s14, v1, 0
	v_mad_u64_u32 v[8:9], null, s16, v1, 0
	s_lshl_b64 s[0:1], s[10:11], 2
	s_waitcnt lgkmcnt(0)
	s_add_u32 s6, s18, s0
	s_addc_u32 s7, s19, s1
	v_mov_b32_e32 v3, v5
	s_lshl_b64 s[0:1], s[2:3], 2
	s_lshl_b64 s[2:3], s[16:17], 6
	v_mad_u64_u32 v[5:6], null, s15, v1, v[3:4]
	v_mov_b32_e32 v3, v9
	v_mad_u64_u32 v[9:10], null, s17, v1, v[3:4]
	v_ashrrev_i32_e32 v3, 31, v2
	v_lshlrev_b64 v[4:5], 2, v[4:5]
	v_lshlrev_b64 v[10:11], 2, v[2:3]
	v_add_co_u32 v6, s0, v4, s0
	v_add_co_ci_u32_e64 v5, null, s1, v5, s0
	v_lshlrev_b64 v[3:4], 2, v[8:9]
	v_add_co_u32 v6, s0, v6, v10
	v_add_co_ci_u32_e64 v8, null, v5, v11, s0
	v_add_co_u32 v3, s0, s6, v3
	v_add_co_ci_u32_e64 v4, null, s7, v4, s0
	;; [unrolled: 2-line block ×3, first 2 shown]
	v_mov_b32_e32 v8, v1
	s_lshl_b64 s[6:7], s[14:15], 6
	s_mov_b32 s8, 0
	s_inst_prefetch 0x1
	s_branch .LBB51_5
	.p2align	6
.LBB51_4:                               ;   in Loop: Header=BB51_5 Depth=1
	s_or_b32 exec_lo, exec_lo, s1
	v_add_nc_u32_e32 v8, 16, v8
	v_add_co_u32 v3, s0, v3, s2
	v_add_co_ci_u32_e64 v4, null, s3, v4, s0
	v_cmp_le_i32_e64 s0, s20, v8
	v_add_co_u32 v5, s1, v5, s6
	v_add_co_ci_u32_e64 v6, null, s7, v6, s1
	s_or_b32 s8, s0, s8
	s_andn2_b32 exec_lo, exec_lo, s8
	s_cbranch_execz .LBB51_7
.LBB51_5:                               ; =>This Inner Loop Header: Depth=1
	s_mov_b32 s1, exec_lo
	v_cmpx_gt_i32_e64 v8, v2
	s_cbranch_execz .LBB51_4
; %bb.6:                                ;   in Loop: Header=BB51_5 Depth=1
	flat_load_dword v9, v[5:6]
	flat_load_dword v10, v[3:4]
	s_waitcnt vmcnt(0) lgkmcnt(0)
	v_fmac_f32_e32 v7, v9, v10
	s_branch .LBB51_4
.LBB51_7:
	s_inst_prefetch 0x2
	s_or_b32 exec_lo, exec_lo, s8
.LBB51_8:
	s_or_b32 exec_lo, exec_lo, s21
	v_lshlrev_b32_e32 v3, 2, v0
	s_waitcnt lgkmcnt(0)
	s_and_b32 s1, 0xffff, s13
	s_mov_b32 s2, exec_lo
	v_mad_u32_u24 v0, v1, s1, v0
	v_lshl_add_u32 v4, v1, 8, v3
	ds_write_b32 v4, v7
	s_waitcnt lgkmcnt(0)
	s_barrier
	buffer_gl0_inv
	v_cmpx_gt_u32_e32 64, v0
	s_cbranch_execz .LBB51_11
; %bb.9:
	v_mul_u32_u24_e32 v0, s1, v1
	v_lshl_add_u32 v9, v0, 2, v3
	ds_read2st64_b32 v[0:1], v9 offset1:1
	ds_read2st64_b32 v[3:4], v9 offset0:2 offset1:3
	ds_read2st64_b32 v[5:6], v9 offset0:4 offset1:5
	ds_read2st64_b32 v[7:8], v9 offset0:6 offset1:7
	s_waitcnt lgkmcnt(3)
	v_add_f32_e32 v0, v0, v1
	s_waitcnt lgkmcnt(2)
	v_add_f32_e32 v0, v3, v0
	v_add_f32_e32 v0, v4, v0
	s_waitcnt lgkmcnt(1)
	v_add_f32_e32 v3, v5, v0
	ds_read2st64_b32 v[0:1], v9 offset0:8 offset1:9
	v_add_f32_e32 v3, v6, v3
	s_waitcnt lgkmcnt(1)
	v_add_f32_e32 v5, v7, v3
	ds_read2st64_b32 v[3:4], v9 offset0:10 offset1:11
	v_add_f32_e32 v10, v8, v5
	ds_read2st64_b32 v[5:6], v9 offset0:12 offset1:13
	ds_read2st64_b32 v[7:8], v9 offset0:14 offset1:15
	s_waitcnt lgkmcnt(3)
	v_add_f32_e32 v0, v0, v10
	v_add_f32_e32 v0, v1, v0
	s_waitcnt lgkmcnt(2)
	v_add_f32_e32 v0, v3, v0
	v_add_f32_e32 v0, v4, v0
	;; [unrolled: 3-line block ×4, first 2 shown]
	ds_write_b32 v9, v0
	s_and_b32 exec_lo, exec_lo, vcc_lo
	s_cbranch_execz .LBB51_11
; %bb.10:
	s_load_dwordx4 s[0:3], s[4:5], 0x48
	v_ashrrev_i32_e32 v3, 31, v2
	v_lshlrev_b64 v[1:2], 2, v[2:3]
	s_waitcnt lgkmcnt(0)
	s_mul_i32 s3, s3, s12
	s_mul_hi_u32 s4, s2, s12
	s_mul_i32 s2, s2, s12
	s_add_i32 s3, s4, s3
	s_lshl_b64 s[2:3], s[2:3], 2
	s_add_u32 s0, s0, s2
	s_addc_u32 s1, s1, s3
	v_add_co_u32 v1, vcc_lo, s0, v1
	v_add_co_ci_u32_e64 v2, null, s1, v2, vcc_lo
	global_store_dword v[1:2], v0, off
.LBB51_11:
	s_endpgm
	.section	.rodata,"a",@progbits
	.p2align	6, 0x0
	.amdhsa_kernel _ZL20rocblas_trmvn_kernelILi64ELi16ELb0ELb0EPKPKfPKPfS4_EviT3_lllT4_lllT5_li
		.amdhsa_group_segment_fixed_size 4096
		.amdhsa_private_segment_fixed_size 0
		.amdhsa_kernarg_size 352
		.amdhsa_user_sgpr_count 6
		.amdhsa_user_sgpr_private_segment_buffer 1
		.amdhsa_user_sgpr_dispatch_ptr 0
		.amdhsa_user_sgpr_queue_ptr 0
		.amdhsa_user_sgpr_kernarg_segment_ptr 1
		.amdhsa_user_sgpr_dispatch_id 0
		.amdhsa_user_sgpr_flat_scratch_init 0
		.amdhsa_user_sgpr_private_segment_size 0
		.amdhsa_wavefront_size32 1
		.amdhsa_uses_dynamic_stack 0
		.amdhsa_system_sgpr_private_segment_wavefront_offset 0
		.amdhsa_system_sgpr_workgroup_id_x 1
		.amdhsa_system_sgpr_workgroup_id_y 0
		.amdhsa_system_sgpr_workgroup_id_z 1
		.amdhsa_system_sgpr_workgroup_info 0
		.amdhsa_system_vgpr_workitem_id 1
		.amdhsa_next_free_vgpr 12
		.amdhsa_next_free_sgpr 22
		.amdhsa_reserve_vcc 1
		.amdhsa_reserve_flat_scratch 0
		.amdhsa_float_round_mode_32 0
		.amdhsa_float_round_mode_16_64 0
		.amdhsa_float_denorm_mode_32 3
		.amdhsa_float_denorm_mode_16_64 3
		.amdhsa_dx10_clamp 1
		.amdhsa_ieee_mode 1
		.amdhsa_fp16_overflow 0
		.amdhsa_workgroup_processor_mode 1
		.amdhsa_memory_ordered 1
		.amdhsa_forward_progress 1
		.amdhsa_shared_vgpr_count 0
		.amdhsa_exception_fp_ieee_invalid_op 0
		.amdhsa_exception_fp_denorm_src 0
		.amdhsa_exception_fp_ieee_div_zero 0
		.amdhsa_exception_fp_ieee_overflow 0
		.amdhsa_exception_fp_ieee_underflow 0
		.amdhsa_exception_fp_ieee_inexact 0
		.amdhsa_exception_int_div_zero 0
	.end_amdhsa_kernel
	.section	.text._ZL20rocblas_trmvn_kernelILi64ELi16ELb0ELb0EPKPKfPKPfS4_EviT3_lllT4_lllT5_li,"axG",@progbits,_ZL20rocblas_trmvn_kernelILi64ELi16ELb0ELb0EPKPKfPKPfS4_EviT3_lllT4_lllT5_li,comdat
.Lfunc_end51:
	.size	_ZL20rocblas_trmvn_kernelILi64ELi16ELb0ELb0EPKPKfPKPfS4_EviT3_lllT4_lllT5_li, .Lfunc_end51-_ZL20rocblas_trmvn_kernelILi64ELi16ELb0ELb0EPKPKfPKPfS4_EviT3_lllT4_lllT5_li
                                        ; -- End function
	.set _ZL20rocblas_trmvn_kernelILi64ELi16ELb0ELb0EPKPKfPKPfS4_EviT3_lllT4_lllT5_li.num_vgpr, 12
	.set _ZL20rocblas_trmvn_kernelILi64ELi16ELb0ELb0EPKPKfPKPfS4_EviT3_lllT4_lllT5_li.num_agpr, 0
	.set _ZL20rocblas_trmvn_kernelILi64ELi16ELb0ELb0EPKPKfPKPfS4_EviT3_lllT4_lllT5_li.numbered_sgpr, 22
	.set _ZL20rocblas_trmvn_kernelILi64ELi16ELb0ELb0EPKPKfPKPfS4_EviT3_lllT4_lllT5_li.num_named_barrier, 0
	.set _ZL20rocblas_trmvn_kernelILi64ELi16ELb0ELb0EPKPKfPKPfS4_EviT3_lllT4_lllT5_li.private_seg_size, 0
	.set _ZL20rocblas_trmvn_kernelILi64ELi16ELb0ELb0EPKPKfPKPfS4_EviT3_lllT4_lllT5_li.uses_vcc, 1
	.set _ZL20rocblas_trmvn_kernelILi64ELi16ELb0ELb0EPKPKfPKPfS4_EviT3_lllT4_lllT5_li.uses_flat_scratch, 0
	.set _ZL20rocblas_trmvn_kernelILi64ELi16ELb0ELb0EPKPKfPKPfS4_EviT3_lllT4_lllT5_li.has_dyn_sized_stack, 0
	.set _ZL20rocblas_trmvn_kernelILi64ELi16ELb0ELb0EPKPKfPKPfS4_EviT3_lllT4_lllT5_li.has_recursion, 0
	.set _ZL20rocblas_trmvn_kernelILi64ELi16ELb0ELb0EPKPKfPKPfS4_EviT3_lllT4_lllT5_li.has_indirect_call, 0
	.section	.AMDGPU.csdata,"",@progbits
; Kernel info:
; codeLenInByte = 960
; TotalNumSgprs: 24
; NumVgprs: 12
; ScratchSize: 0
; MemoryBound: 0
; FloatMode: 240
; IeeeMode: 1
; LDSByteSize: 4096 bytes/workgroup (compile time only)
; SGPRBlocks: 0
; VGPRBlocks: 1
; NumSGPRsForWavesPerEU: 24
; NumVGPRsForWavesPerEU: 12
; Occupancy: 16
; WaveLimiterHint : 1
; COMPUTE_PGM_RSRC2:SCRATCH_EN: 0
; COMPUTE_PGM_RSRC2:USER_SGPR: 6
; COMPUTE_PGM_RSRC2:TRAP_HANDLER: 0
; COMPUTE_PGM_RSRC2:TGID_X_EN: 1
; COMPUTE_PGM_RSRC2:TGID_Y_EN: 0
; COMPUTE_PGM_RSRC2:TGID_Z_EN: 1
; COMPUTE_PGM_RSRC2:TIDIG_COMP_CNT: 1
	.section	.text._ZL20rocblas_trmvt_kernelILi512ELb0ELb0ELb0EPKPKfPKPfS4_EviT3_lllT4_lllT5_li,"axG",@progbits,_ZL20rocblas_trmvt_kernelILi512ELb0ELb0ELb0EPKPKfPKPfS4_EviT3_lllT4_lllT5_li,comdat
	.globl	_ZL20rocblas_trmvt_kernelILi512ELb0ELb0ELb0EPKPKfPKPfS4_EviT3_lllT4_lllT5_li ; -- Begin function _ZL20rocblas_trmvt_kernelILi512ELb0ELb0ELb0EPKPKfPKPfS4_EviT3_lllT4_lllT5_li
	.p2align	8
	.type	_ZL20rocblas_trmvt_kernelILi512ELb0ELb0ELb0EPKPKfPKPfS4_EviT3_lllT4_lllT5_li,@function
_ZL20rocblas_trmvt_kernelILi512ELb0ELb0ELb0EPKPKfPKPfS4_EviT3_lllT4_lllT5_li: ; @_ZL20rocblas_trmvt_kernelILi512ELb0ELb0ELb0EPKPKfPKPfS4_EviT3_lllT4_lllT5_li
; %bb.0:
	s_load_dwordx4 s[12:15], s[4:5], 0x8
	s_mov_b32 s2, s7
	s_mov_b32 s3, 0
	v_mov_b32_e32 v5, 0
	s_lshl_b64 s[16:17], s[2:3], 3
	s_load_dword s3, s[4:5], 0x0
	s_waitcnt lgkmcnt(0)
	s_add_u32 s0, s12, s16
	s_addc_u32 s1, s13, s17
	s_load_dwordx2 s[18:19], s[4:5], 0x18
	s_load_dwordx2 s[20:21], s[0:1], 0x0
	s_clause 0x1
	s_load_dwordx4 s[8:11], s[4:5], 0x28
	s_load_dwordx2 s[12:13], s[4:5], 0x38
	s_lshl_b64 s[14:15], s[14:15], 2
	v_cmp_gt_i32_e64 s0, s3, v0
	v_cndmask_b32_e64 v1, 0, v0, s0
	v_lshlrev_b32_e32 v1, 2, v1
	s_waitcnt lgkmcnt(0)
	s_mul_hi_u32 s1, s18, s6
	s_add_u32 s20, s20, s14
	s_addc_u32 s21, s21, s15
	s_add_u32 s8, s8, s16
	s_addc_u32 s9, s9, s17
	s_ashr_i32 s7, s6, 31
	s_load_dwordx2 s[8:9], s[8:9], 0x0
	s_mul_i32 s14, s18, s7
	s_add_i32 s1, s1, s14
	s_mul_i32 s14, s19, s6
	s_add_i32 s15, s1, s14
	v_add_co_u32 v1, s1, s20, v1
	s_mul_i32 s14, s18, s6
	v_add_co_ci_u32_e64 v2, null, s21, 0, s1
	s_lshl_b64 s[14:15], s[14:15], 2
	v_add_co_u32 v1, vcc_lo, v1, s14
	v_add_co_ci_u32_e64 v2, null, s15, v2, vcc_lo
	v_cmp_eq_u32_e32 vcc_lo, 0, v0
	s_and_saveexec_b32 s14, vcc_lo
	s_cbranch_execz .LBB52_2
; %bb.1:
	s_lshl_b64 s[16:17], s[10:11], 2
	s_mul_i32 s1, s12, s7
	s_waitcnt lgkmcnt(0)
	s_add_u32 s15, s8, s16
	s_mul_hi_u32 s16, s12, s6
	s_addc_u32 s20, s9, s17
	s_add_i32 s1, s16, s1
	s_mul_i32 s16, s13, s6
	s_lshl_b64 s[18:19], s[6:7], 2
	s_add_i32 s17, s1, s16
	s_mul_i32 s16, s12, s6
	v_add_co_u32 v3, s1, v1, s18
	s_lshl_b64 s[16:17], s[16:17], 2
	v_add_co_ci_u32_e64 v4, null, s19, v2, s1
	s_add_u32 s16, s15, s16
	s_addc_u32 s17, s20, s17
	v_mov_b32_e32 v5, s16
	v_mov_b32_e32 v6, s17
	flat_load_dword v3, v[3:4]
	flat_load_dword v4, v[5:6]
	s_waitcnt vmcnt(0) lgkmcnt(0)
	v_fma_f32 v5, v3, v4, 0
.LBB52_2:
	s_or_b32 exec_lo, exec_lo, s14
	s_and_saveexec_b32 s14, s0
	s_cbranch_execz .LBB52_8
; %bb.3:
	v_mad_u64_u32 v[3:4], null, s12, v0, 0
	s_lshl_b64 s[0:1], s[10:11], 2
	s_mov_b32 s10, 0
	s_waitcnt lgkmcnt(0)
	s_add_u32 s0, s8, s0
	s_addc_u32 s1, s9, s1
	s_lshl_b64 s[8:9], s[12:13], 11
	v_mad_u64_u32 v[6:7], null, s13, v0, v[4:5]
	v_mov_b32_e32 v4, v6
	v_mov_b32_e32 v6, v0
	v_lshlrev_b64 v[3:4], 2, v[3:4]
	v_add_co_u32 v3, s0, s0, v3
	v_add_co_ci_u32_e64 v4, null, s1, v4, s0
	s_inst_prefetch 0x1
	s_branch .LBB52_5
	.p2align	6
.LBB52_4:                               ;   in Loop: Header=BB52_5 Depth=1
	s_or_b32 exec_lo, exec_lo, s1
	v_add_nc_u32_e32 v6, 0x200, v6
	v_add_co_u32 v1, s0, 0x800, v1
	v_add_co_ci_u32_e64 v2, null, 0, v2, s0
	v_cmp_le_i32_e64 s0, s3, v6
	v_add_co_u32 v3, s1, v3, s8
	v_add_co_ci_u32_e64 v4, null, s9, v4, s1
	s_or_b32 s10, s0, s10
	s_andn2_b32 exec_lo, exec_lo, s10
	s_cbranch_execz .LBB52_7
.LBB52_5:                               ; =>This Inner Loop Header: Depth=1
	s_mov_b32 s1, exec_lo
	v_cmpx_gt_i32_e64 s6, v6
	s_cbranch_execz .LBB52_4
; %bb.6:                                ;   in Loop: Header=BB52_5 Depth=1
	flat_load_dword v7, v[1:2]
	flat_load_dword v8, v[3:4]
	s_waitcnt vmcnt(0) lgkmcnt(0)
	v_fmac_f32_e32 v5, v7, v8
	s_branch .LBB52_4
.LBB52_7:
	s_inst_prefetch 0x2
	s_or_b32 exec_lo, exec_lo, s10
.LBB52_8:
	s_or_b32 exec_lo, exec_lo, s14
	v_and_b32_e32 v6, 31, v0
	v_cmp_gt_u32_e64 s0, 32, v0
	v_lshlrev_b32_e32 v1, 2, v6
	s_and_saveexec_b32 s1, s0
; %bb.9:
	v_mov_b32_e32 v2, 0
	ds_write_b32 v1, v2
; %bb.10:
	s_or_b32 exec_lo, exec_lo, s1
	v_mbcnt_lo_u32_b32 v7, -1, 0
	s_mov_b32 s3, exec_lo
	s_waitcnt lgkmcnt(0)
	s_barrier
	buffer_gl0_inv
	v_lshl_or_b32 v2, v7, 2, 64
	v_cmp_gt_u32_e64 s1, 24, v7
	ds_bpermute_b32 v3, v2, v5
	v_cndmask_b32_e64 v2, 0, 8, s1
	v_cmp_gt_u32_e64 s1, 28, v7
	v_add_lshl_u32 v2, v2, v7, 2
	s_waitcnt lgkmcnt(0)
	v_add_f32_e32 v4, v5, v3
	v_cndmask_b32_e64 v3, 0, 4, s1
	v_cmp_gt_u32_e64 s1, 30, v7
	ds_bpermute_b32 v5, v2, v4
	v_add_lshl_u32 v3, v3, v7, 2
	s_waitcnt lgkmcnt(0)
	v_add_f32_e32 v5, v4, v5
	v_cndmask_b32_e64 v4, 0, 2, s1
	v_cmp_ne_u32_e64 s1, 31, v7
	ds_bpermute_b32 v8, v3, v5
	v_add_lshl_u32 v4, v4, v7, 2
	v_add_co_ci_u32_e64 v9, null, 0, v7, s1
	s_waitcnt lgkmcnt(0)
	v_add_f32_e32 v5, v5, v8
	ds_bpermute_b32 v8, v4, v5
	s_waitcnt lgkmcnt(0)
	v_add_f32_e32 v7, v5, v8
	v_lshlrev_b32_e32 v5, 2, v9
	ds_bpermute_b32 v8, v5, v7
	v_cmpx_eq_u32_e32 0, v6
	s_cbranch_execz .LBB52_12
; %bb.11:
	v_lshrrev_b32_e32 v6, 3, v0
	s_waitcnt lgkmcnt(0)
	v_add_f32_e32 v7, v7, v8
	v_and_b32_e32 v6, 60, v6
	ds_write_b32 v6, v7
.LBB52_12:
	s_or_b32 exec_lo, exec_lo, s3
	v_cmp_gt_u32_e64 s1, 16, v0
	v_mov_b32_e32 v0, 0
	s_waitcnt lgkmcnt(0)
	s_barrier
	buffer_gl0_inv
	s_and_saveexec_b32 s3, s1
	s_cbranch_execnz .LBB52_16
; %bb.13:
	s_or_b32 exec_lo, exec_lo, s3
	s_and_saveexec_b32 s1, s0
	s_cbranch_execnz .LBB52_17
.LBB52_14:
	s_or_b32 exec_lo, exec_lo, s1
	s_and_saveexec_b32 s0, vcc_lo
	s_cbranch_execnz .LBB52_18
.LBB52_15:
	s_endpgm
.LBB52_16:
	ds_read_b32 v0, v1
	s_or_b32 exec_lo, exec_lo, s3
	s_and_saveexec_b32 s1, s0
	s_cbranch_execz .LBB52_14
.LBB52_17:
	s_waitcnt lgkmcnt(0)
	ds_bpermute_b32 v1, v2, v0
	s_waitcnt lgkmcnt(0)
	v_add_f32_e32 v0, v0, v1
	ds_bpermute_b32 v1, v3, v0
	s_waitcnt lgkmcnt(0)
	v_add_f32_e32 v0, v0, v1
	;; [unrolled: 3-line block ×4, first 2 shown]
	s_or_b32 exec_lo, exec_lo, s1
	s_and_saveexec_b32 s0, vcc_lo
	s_cbranch_execz .LBB52_15
.LBB52_18:
	s_load_dwordx4 s[8:11], s[4:5], 0x48
	v_mov_b32_e32 v1, 0
	s_waitcnt lgkmcnt(0)
	s_mul_i32 s1, s11, s2
	s_mul_hi_u32 s3, s10, s2
	s_mul_i32 s0, s10, s2
	s_add_i32 s1, s3, s1
	s_lshl_b64 s[0:1], s[0:1], 2
	s_add_u32 s2, s8, s0
	s_addc_u32 s3, s9, s1
	s_lshl_b64 s[0:1], s[6:7], 2
	s_add_u32 s0, s2, s0
	s_addc_u32 s1, s3, s1
	global_store_dword v1, v0, s[0:1]
	s_endpgm
	.section	.rodata,"a",@progbits
	.p2align	6, 0x0
	.amdhsa_kernel _ZL20rocblas_trmvt_kernelILi512ELb0ELb0ELb0EPKPKfPKPfS4_EviT3_lllT4_lllT5_li
		.amdhsa_group_segment_fixed_size 128
		.amdhsa_private_segment_fixed_size 0
		.amdhsa_kernarg_size 92
		.amdhsa_user_sgpr_count 6
		.amdhsa_user_sgpr_private_segment_buffer 1
		.amdhsa_user_sgpr_dispatch_ptr 0
		.amdhsa_user_sgpr_queue_ptr 0
		.amdhsa_user_sgpr_kernarg_segment_ptr 1
		.amdhsa_user_sgpr_dispatch_id 0
		.amdhsa_user_sgpr_flat_scratch_init 0
		.amdhsa_user_sgpr_private_segment_size 0
		.amdhsa_wavefront_size32 1
		.amdhsa_uses_dynamic_stack 0
		.amdhsa_system_sgpr_private_segment_wavefront_offset 0
		.amdhsa_system_sgpr_workgroup_id_x 1
		.amdhsa_system_sgpr_workgroup_id_y 0
		.amdhsa_system_sgpr_workgroup_id_z 1
		.amdhsa_system_sgpr_workgroup_info 0
		.amdhsa_system_vgpr_workitem_id 0
		.amdhsa_next_free_vgpr 10
		.amdhsa_next_free_sgpr 22
		.amdhsa_reserve_vcc 1
		.amdhsa_reserve_flat_scratch 0
		.amdhsa_float_round_mode_32 0
		.amdhsa_float_round_mode_16_64 0
		.amdhsa_float_denorm_mode_32 3
		.amdhsa_float_denorm_mode_16_64 3
		.amdhsa_dx10_clamp 1
		.amdhsa_ieee_mode 1
		.amdhsa_fp16_overflow 0
		.amdhsa_workgroup_processor_mode 1
		.amdhsa_memory_ordered 1
		.amdhsa_forward_progress 1
		.amdhsa_shared_vgpr_count 0
		.amdhsa_exception_fp_ieee_invalid_op 0
		.amdhsa_exception_fp_denorm_src 0
		.amdhsa_exception_fp_ieee_div_zero 0
		.amdhsa_exception_fp_ieee_overflow 0
		.amdhsa_exception_fp_ieee_underflow 0
		.amdhsa_exception_fp_ieee_inexact 0
		.amdhsa_exception_int_div_zero 0
	.end_amdhsa_kernel
	.section	.text._ZL20rocblas_trmvt_kernelILi512ELb0ELb0ELb0EPKPKfPKPfS4_EviT3_lllT4_lllT5_li,"axG",@progbits,_ZL20rocblas_trmvt_kernelILi512ELb0ELb0ELb0EPKPKfPKPfS4_EviT3_lllT4_lllT5_li,comdat
.Lfunc_end52:
	.size	_ZL20rocblas_trmvt_kernelILi512ELb0ELb0ELb0EPKPKfPKPfS4_EviT3_lllT4_lllT5_li, .Lfunc_end52-_ZL20rocblas_trmvt_kernelILi512ELb0ELb0ELb0EPKPKfPKPfS4_EviT3_lllT4_lllT5_li
                                        ; -- End function
	.set _ZL20rocblas_trmvt_kernelILi512ELb0ELb0ELb0EPKPKfPKPfS4_EviT3_lllT4_lllT5_li.num_vgpr, 10
	.set _ZL20rocblas_trmvt_kernelILi512ELb0ELb0ELb0EPKPKfPKPfS4_EviT3_lllT4_lllT5_li.num_agpr, 0
	.set _ZL20rocblas_trmvt_kernelILi512ELb0ELb0ELb0EPKPKfPKPfS4_EviT3_lllT4_lllT5_li.numbered_sgpr, 22
	.set _ZL20rocblas_trmvt_kernelILi512ELb0ELb0ELb0EPKPKfPKPfS4_EviT3_lllT4_lllT5_li.num_named_barrier, 0
	.set _ZL20rocblas_trmvt_kernelILi512ELb0ELb0ELb0EPKPKfPKPfS4_EviT3_lllT4_lllT5_li.private_seg_size, 0
	.set _ZL20rocblas_trmvt_kernelILi512ELb0ELb0ELb0EPKPKfPKPfS4_EviT3_lllT4_lllT5_li.uses_vcc, 1
	.set _ZL20rocblas_trmvt_kernelILi512ELb0ELb0ELb0EPKPKfPKPfS4_EviT3_lllT4_lllT5_li.uses_flat_scratch, 0
	.set _ZL20rocblas_trmvt_kernelILi512ELb0ELb0ELb0EPKPKfPKPfS4_EviT3_lllT4_lllT5_li.has_dyn_sized_stack, 0
	.set _ZL20rocblas_trmvt_kernelILi512ELb0ELb0ELb0EPKPKfPKPfS4_EviT3_lllT4_lllT5_li.has_recursion, 0
	.set _ZL20rocblas_trmvt_kernelILi512ELb0ELb0ELb0EPKPKfPKPfS4_EviT3_lllT4_lllT5_li.has_indirect_call, 0
	.section	.AMDGPU.csdata,"",@progbits
; Kernel info:
; codeLenInByte = 1076
; TotalNumSgprs: 24
; NumVgprs: 10
; ScratchSize: 0
; MemoryBound: 0
; FloatMode: 240
; IeeeMode: 1
; LDSByteSize: 128 bytes/workgroup (compile time only)
; SGPRBlocks: 0
; VGPRBlocks: 1
; NumSGPRsForWavesPerEU: 24
; NumVGPRsForWavesPerEU: 10
; Occupancy: 16
; WaveLimiterHint : 1
; COMPUTE_PGM_RSRC2:SCRATCH_EN: 0
; COMPUTE_PGM_RSRC2:USER_SGPR: 6
; COMPUTE_PGM_RSRC2:TRAP_HANDLER: 0
; COMPUTE_PGM_RSRC2:TGID_X_EN: 1
; COMPUTE_PGM_RSRC2:TGID_Y_EN: 0
; COMPUTE_PGM_RSRC2:TGID_Z_EN: 1
; COMPUTE_PGM_RSRC2:TIDIG_COMP_CNT: 0
	.section	.text._ZL20rocblas_trmvt_kernelILi512ELb0ELb1ELb0EPKPKfPKPfS4_EviT3_lllT4_lllT5_li,"axG",@progbits,_ZL20rocblas_trmvt_kernelILi512ELb0ELb1ELb0EPKPKfPKPfS4_EviT3_lllT4_lllT5_li,comdat
	.globl	_ZL20rocblas_trmvt_kernelILi512ELb0ELb1ELb0EPKPKfPKPfS4_EviT3_lllT4_lllT5_li ; -- Begin function _ZL20rocblas_trmvt_kernelILi512ELb0ELb1ELb0EPKPKfPKPfS4_EviT3_lllT4_lllT5_li
	.p2align	8
	.type	_ZL20rocblas_trmvt_kernelILi512ELb0ELb1ELb0EPKPKfPKPfS4_EviT3_lllT4_lllT5_li,@function
_ZL20rocblas_trmvt_kernelILi512ELb0ELb1ELb0EPKPKfPKPfS4_EviT3_lllT4_lllT5_li: ; @_ZL20rocblas_trmvt_kernelILi512ELb0ELb1ELb0EPKPKfPKPfS4_EviT3_lllT4_lllT5_li
; %bb.0:
	s_load_dwordx4 s[12:15], s[4:5], 0x8
	s_mov_b32 s2, s7
	s_mov_b32 s3, 0
	v_mov_b32_e32 v5, 0
	s_lshl_b64 s[16:17], s[2:3], 3
	s_load_dword s3, s[4:5], 0x0
	s_waitcnt lgkmcnt(0)
	s_add_u32 s0, s12, s16
	s_addc_u32 s1, s13, s17
	s_load_dwordx2 s[18:19], s[4:5], 0x18
	s_load_dwordx2 s[20:21], s[0:1], 0x0
	s_clause 0x1
	s_load_dwordx4 s[8:11], s[4:5], 0x28
	s_load_dwordx2 s[12:13], s[4:5], 0x38
	s_lshl_b64 s[14:15], s[14:15], 2
	v_cmp_gt_i32_e64 s0, s3, v0
	v_cndmask_b32_e64 v1, 0, v0, s0
	v_lshlrev_b32_e32 v1, 2, v1
	s_waitcnt lgkmcnt(0)
	s_mul_hi_u32 s1, s18, s6
	s_add_u32 s20, s20, s14
	s_addc_u32 s21, s21, s15
	s_add_u32 s8, s8, s16
	s_addc_u32 s9, s9, s17
	s_ashr_i32 s7, s6, 31
	s_load_dwordx2 s[8:9], s[8:9], 0x0
	s_mul_i32 s14, s18, s7
	s_add_i32 s1, s1, s14
	s_mul_i32 s14, s19, s6
	s_add_i32 s15, s1, s14
	v_add_co_u32 v1, s1, s20, v1
	s_mul_i32 s14, s18, s6
	v_add_co_ci_u32_e64 v2, null, s21, 0, s1
	s_lshl_b64 s[14:15], s[14:15], 2
	v_add_co_u32 v1, vcc_lo, v1, s14
	v_add_co_ci_u32_e64 v2, null, s15, v2, vcc_lo
	v_cmp_eq_u32_e32 vcc_lo, 0, v0
	s_and_saveexec_b32 s14, vcc_lo
	s_cbranch_execz .LBB53_2
; %bb.1:
	s_lshl_b64 s[16:17], s[10:11], 2
	s_mul_i32 s1, s12, s7
	s_waitcnt lgkmcnt(0)
	s_add_u32 s15, s8, s16
	s_mul_hi_u32 s16, s12, s6
	s_addc_u32 s20, s9, s17
	s_add_i32 s1, s16, s1
	s_mul_i32 s16, s13, s6
	s_lshl_b64 s[18:19], s[6:7], 2
	s_add_i32 s17, s1, s16
	s_mul_i32 s16, s12, s6
	v_add_co_u32 v3, s1, v1, s18
	s_lshl_b64 s[16:17], s[16:17], 2
	v_add_co_ci_u32_e64 v4, null, s19, v2, s1
	s_add_u32 s16, s15, s16
	s_addc_u32 s17, s20, s17
	v_mov_b32_e32 v5, s16
	v_mov_b32_e32 v6, s17
	flat_load_dword v3, v[3:4]
	flat_load_dword v4, v[5:6]
	s_waitcnt vmcnt(0) lgkmcnt(0)
	v_fma_f32 v5, v3, v4, 0
.LBB53_2:
	s_or_b32 exec_lo, exec_lo, s14
	s_and_saveexec_b32 s14, s0
	s_cbranch_execz .LBB53_8
; %bb.3:
	v_mad_u64_u32 v[3:4], null, s12, v0, 0
	s_lshl_b64 s[0:1], s[10:11], 2
	s_mov_b32 s10, 0
	s_waitcnt lgkmcnt(0)
	s_add_u32 s0, s8, s0
	s_addc_u32 s1, s9, s1
	s_lshl_b64 s[8:9], s[12:13], 11
	v_mad_u64_u32 v[6:7], null, s13, v0, v[4:5]
	v_mov_b32_e32 v4, v6
	v_mov_b32_e32 v6, v0
	v_lshlrev_b64 v[3:4], 2, v[3:4]
	v_add_co_u32 v3, s0, s0, v3
	v_add_co_ci_u32_e64 v4, null, s1, v4, s0
	s_inst_prefetch 0x1
	s_branch .LBB53_5
	.p2align	6
.LBB53_4:                               ;   in Loop: Header=BB53_5 Depth=1
	s_or_b32 exec_lo, exec_lo, s1
	v_add_nc_u32_e32 v6, 0x200, v6
	v_add_co_u32 v1, s0, 0x800, v1
	v_add_co_ci_u32_e64 v2, null, 0, v2, s0
	v_cmp_le_i32_e64 s0, s3, v6
	v_add_co_u32 v3, s1, v3, s8
	v_add_co_ci_u32_e64 v4, null, s9, v4, s1
	s_or_b32 s10, s0, s10
	s_andn2_b32 exec_lo, exec_lo, s10
	s_cbranch_execz .LBB53_7
.LBB53_5:                               ; =>This Inner Loop Header: Depth=1
	s_mov_b32 s1, exec_lo
	v_cmpx_gt_i32_e64 s6, v6
	s_cbranch_execz .LBB53_4
; %bb.6:                                ;   in Loop: Header=BB53_5 Depth=1
	flat_load_dword v7, v[1:2]
	flat_load_dword v8, v[3:4]
	s_waitcnt vmcnt(0) lgkmcnt(0)
	v_fmac_f32_e32 v5, v7, v8
	s_branch .LBB53_4
.LBB53_7:
	s_inst_prefetch 0x2
	s_or_b32 exec_lo, exec_lo, s10
.LBB53_8:
	s_or_b32 exec_lo, exec_lo, s14
	v_and_b32_e32 v6, 31, v0
	v_cmp_gt_u32_e64 s0, 32, v0
	v_lshlrev_b32_e32 v1, 2, v6
	s_and_saveexec_b32 s1, s0
; %bb.9:
	v_mov_b32_e32 v2, 0
	ds_write_b32 v1, v2
; %bb.10:
	s_or_b32 exec_lo, exec_lo, s1
	v_mbcnt_lo_u32_b32 v7, -1, 0
	s_mov_b32 s3, exec_lo
	s_waitcnt lgkmcnt(0)
	s_barrier
	buffer_gl0_inv
	v_lshl_or_b32 v2, v7, 2, 64
	v_cmp_gt_u32_e64 s1, 24, v7
	ds_bpermute_b32 v3, v2, v5
	v_cndmask_b32_e64 v2, 0, 8, s1
	v_cmp_gt_u32_e64 s1, 28, v7
	v_add_lshl_u32 v2, v2, v7, 2
	s_waitcnt lgkmcnt(0)
	v_add_f32_e32 v4, v5, v3
	v_cndmask_b32_e64 v3, 0, 4, s1
	v_cmp_gt_u32_e64 s1, 30, v7
	ds_bpermute_b32 v5, v2, v4
	v_add_lshl_u32 v3, v3, v7, 2
	s_waitcnt lgkmcnt(0)
	v_add_f32_e32 v5, v4, v5
	v_cndmask_b32_e64 v4, 0, 2, s1
	v_cmp_ne_u32_e64 s1, 31, v7
	ds_bpermute_b32 v8, v3, v5
	v_add_lshl_u32 v4, v4, v7, 2
	v_add_co_ci_u32_e64 v9, null, 0, v7, s1
	s_waitcnt lgkmcnt(0)
	v_add_f32_e32 v5, v5, v8
	ds_bpermute_b32 v8, v4, v5
	s_waitcnt lgkmcnt(0)
	v_add_f32_e32 v7, v5, v8
	v_lshlrev_b32_e32 v5, 2, v9
	ds_bpermute_b32 v8, v5, v7
	v_cmpx_eq_u32_e32 0, v6
	s_cbranch_execz .LBB53_12
; %bb.11:
	v_lshrrev_b32_e32 v6, 3, v0
	s_waitcnt lgkmcnt(0)
	v_add_f32_e32 v7, v7, v8
	v_and_b32_e32 v6, 60, v6
	ds_write_b32 v6, v7
.LBB53_12:
	s_or_b32 exec_lo, exec_lo, s3
	v_cmp_gt_u32_e64 s1, 16, v0
	v_mov_b32_e32 v0, 0
	s_waitcnt lgkmcnt(0)
	s_barrier
	buffer_gl0_inv
	s_and_saveexec_b32 s3, s1
	s_cbranch_execnz .LBB53_16
; %bb.13:
	s_or_b32 exec_lo, exec_lo, s3
	s_and_saveexec_b32 s1, s0
	s_cbranch_execnz .LBB53_17
.LBB53_14:
	s_or_b32 exec_lo, exec_lo, s1
	s_and_saveexec_b32 s0, vcc_lo
	s_cbranch_execnz .LBB53_18
.LBB53_15:
	s_endpgm
.LBB53_16:
	ds_read_b32 v0, v1
	s_or_b32 exec_lo, exec_lo, s3
	s_and_saveexec_b32 s1, s0
	s_cbranch_execz .LBB53_14
.LBB53_17:
	s_waitcnt lgkmcnt(0)
	ds_bpermute_b32 v1, v2, v0
	s_waitcnt lgkmcnt(0)
	v_add_f32_e32 v0, v0, v1
	ds_bpermute_b32 v1, v3, v0
	s_waitcnt lgkmcnt(0)
	v_add_f32_e32 v0, v0, v1
	;; [unrolled: 3-line block ×4, first 2 shown]
	s_or_b32 exec_lo, exec_lo, s1
	s_and_saveexec_b32 s0, vcc_lo
	s_cbranch_execz .LBB53_15
.LBB53_18:
	s_load_dwordx4 s[8:11], s[4:5], 0x48
	v_mov_b32_e32 v1, 0
	s_waitcnt lgkmcnt(0)
	s_mul_i32 s1, s11, s2
	s_mul_hi_u32 s3, s10, s2
	s_mul_i32 s0, s10, s2
	s_add_i32 s1, s3, s1
	s_lshl_b64 s[0:1], s[0:1], 2
	s_add_u32 s2, s8, s0
	s_addc_u32 s3, s9, s1
	s_lshl_b64 s[0:1], s[6:7], 2
	s_add_u32 s0, s2, s0
	s_addc_u32 s1, s3, s1
	global_store_dword v1, v0, s[0:1]
	s_endpgm
	.section	.rodata,"a",@progbits
	.p2align	6, 0x0
	.amdhsa_kernel _ZL20rocblas_trmvt_kernelILi512ELb0ELb1ELb0EPKPKfPKPfS4_EviT3_lllT4_lllT5_li
		.amdhsa_group_segment_fixed_size 128
		.amdhsa_private_segment_fixed_size 0
		.amdhsa_kernarg_size 92
		.amdhsa_user_sgpr_count 6
		.amdhsa_user_sgpr_private_segment_buffer 1
		.amdhsa_user_sgpr_dispatch_ptr 0
		.amdhsa_user_sgpr_queue_ptr 0
		.amdhsa_user_sgpr_kernarg_segment_ptr 1
		.amdhsa_user_sgpr_dispatch_id 0
		.amdhsa_user_sgpr_flat_scratch_init 0
		.amdhsa_user_sgpr_private_segment_size 0
		.amdhsa_wavefront_size32 1
		.amdhsa_uses_dynamic_stack 0
		.amdhsa_system_sgpr_private_segment_wavefront_offset 0
		.amdhsa_system_sgpr_workgroup_id_x 1
		.amdhsa_system_sgpr_workgroup_id_y 0
		.amdhsa_system_sgpr_workgroup_id_z 1
		.amdhsa_system_sgpr_workgroup_info 0
		.amdhsa_system_vgpr_workitem_id 0
		.amdhsa_next_free_vgpr 10
		.amdhsa_next_free_sgpr 22
		.amdhsa_reserve_vcc 1
		.amdhsa_reserve_flat_scratch 0
		.amdhsa_float_round_mode_32 0
		.amdhsa_float_round_mode_16_64 0
		.amdhsa_float_denorm_mode_32 3
		.amdhsa_float_denorm_mode_16_64 3
		.amdhsa_dx10_clamp 1
		.amdhsa_ieee_mode 1
		.amdhsa_fp16_overflow 0
		.amdhsa_workgroup_processor_mode 1
		.amdhsa_memory_ordered 1
		.amdhsa_forward_progress 1
		.amdhsa_shared_vgpr_count 0
		.amdhsa_exception_fp_ieee_invalid_op 0
		.amdhsa_exception_fp_denorm_src 0
		.amdhsa_exception_fp_ieee_div_zero 0
		.amdhsa_exception_fp_ieee_overflow 0
		.amdhsa_exception_fp_ieee_underflow 0
		.amdhsa_exception_fp_ieee_inexact 0
		.amdhsa_exception_int_div_zero 0
	.end_amdhsa_kernel
	.section	.text._ZL20rocblas_trmvt_kernelILi512ELb0ELb1ELb0EPKPKfPKPfS4_EviT3_lllT4_lllT5_li,"axG",@progbits,_ZL20rocblas_trmvt_kernelILi512ELb0ELb1ELb0EPKPKfPKPfS4_EviT3_lllT4_lllT5_li,comdat
.Lfunc_end53:
	.size	_ZL20rocblas_trmvt_kernelILi512ELb0ELb1ELb0EPKPKfPKPfS4_EviT3_lllT4_lllT5_li, .Lfunc_end53-_ZL20rocblas_trmvt_kernelILi512ELb0ELb1ELb0EPKPKfPKPfS4_EviT3_lllT4_lllT5_li
                                        ; -- End function
	.set _ZL20rocblas_trmvt_kernelILi512ELb0ELb1ELb0EPKPKfPKPfS4_EviT3_lllT4_lllT5_li.num_vgpr, 10
	.set _ZL20rocblas_trmvt_kernelILi512ELb0ELb1ELb0EPKPKfPKPfS4_EviT3_lllT4_lllT5_li.num_agpr, 0
	.set _ZL20rocblas_trmvt_kernelILi512ELb0ELb1ELb0EPKPKfPKPfS4_EviT3_lllT4_lllT5_li.numbered_sgpr, 22
	.set _ZL20rocblas_trmvt_kernelILi512ELb0ELb1ELb0EPKPKfPKPfS4_EviT3_lllT4_lllT5_li.num_named_barrier, 0
	.set _ZL20rocblas_trmvt_kernelILi512ELb0ELb1ELb0EPKPKfPKPfS4_EviT3_lllT4_lllT5_li.private_seg_size, 0
	.set _ZL20rocblas_trmvt_kernelILi512ELb0ELb1ELb0EPKPKfPKPfS4_EviT3_lllT4_lllT5_li.uses_vcc, 1
	.set _ZL20rocblas_trmvt_kernelILi512ELb0ELb1ELb0EPKPKfPKPfS4_EviT3_lllT4_lllT5_li.uses_flat_scratch, 0
	.set _ZL20rocblas_trmvt_kernelILi512ELb0ELb1ELb0EPKPKfPKPfS4_EviT3_lllT4_lllT5_li.has_dyn_sized_stack, 0
	.set _ZL20rocblas_trmvt_kernelILi512ELb0ELb1ELb0EPKPKfPKPfS4_EviT3_lllT4_lllT5_li.has_recursion, 0
	.set _ZL20rocblas_trmvt_kernelILi512ELb0ELb1ELb0EPKPKfPKPfS4_EviT3_lllT4_lllT5_li.has_indirect_call, 0
	.section	.AMDGPU.csdata,"",@progbits
; Kernel info:
; codeLenInByte = 1076
; TotalNumSgprs: 24
; NumVgprs: 10
; ScratchSize: 0
; MemoryBound: 0
; FloatMode: 240
; IeeeMode: 1
; LDSByteSize: 128 bytes/workgroup (compile time only)
; SGPRBlocks: 0
; VGPRBlocks: 1
; NumSGPRsForWavesPerEU: 24
; NumVGPRsForWavesPerEU: 10
; Occupancy: 16
; WaveLimiterHint : 1
; COMPUTE_PGM_RSRC2:SCRATCH_EN: 0
; COMPUTE_PGM_RSRC2:USER_SGPR: 6
; COMPUTE_PGM_RSRC2:TRAP_HANDLER: 0
; COMPUTE_PGM_RSRC2:TGID_X_EN: 1
; COMPUTE_PGM_RSRC2:TGID_Y_EN: 0
; COMPUTE_PGM_RSRC2:TGID_Z_EN: 1
; COMPUTE_PGM_RSRC2:TIDIG_COMP_CNT: 0
	.section	.text._ZL20rocblas_trmvn_kernelILi64ELi16ELb1ELb1EPKPKfPKPfS4_EviT3_lllT4_lllT5_li,"axG",@progbits,_ZL20rocblas_trmvn_kernelILi64ELi16ELb1ELb1EPKPKfPKPfS4_EviT3_lllT4_lllT5_li,comdat
	.globl	_ZL20rocblas_trmvn_kernelILi64ELi16ELb1ELb1EPKPKfPKPfS4_EviT3_lllT4_lllT5_li ; -- Begin function _ZL20rocblas_trmvn_kernelILi64ELi16ELb1ELb1EPKPKfPKPfS4_EviT3_lllT4_lllT5_li
	.p2align	8
	.type	_ZL20rocblas_trmvn_kernelILi64ELi16ELb1ELb1EPKPKfPKPfS4_EviT3_lllT4_lllT5_li,@function
_ZL20rocblas_trmvn_kernelILi64ELi16ELb1ELb1EPKPKfPKPfS4_EviT3_lllT4_lllT5_li: ; @_ZL20rocblas_trmvn_kernelILi64ELi16ELb1ELb1EPKPKfPKPfS4_EviT3_lllT4_lllT5_li
; %bb.0:
	s_clause 0x1
	s_load_dwordx4 s[0:3], s[4:5], 0x8
	s_load_dwordx4 s[8:11], s[4:5], 0x28
	s_mov_b32 s12, s7
	s_mov_b32 s13, 0
	s_clause 0x1
	s_load_dword s18, s[4:5], 0x0
	s_load_dwordx2 s[14:15], s[4:5], 0x38
	s_lshl_b64 s[20:21], s[12:13], 3
	v_lshl_add_u32 v2, s6, 6, v0
	v_mov_b32_e32 v7, 0
	s_waitcnt lgkmcnt(0)
	s_add_u32 s16, s0, s20
	s_addc_u32 s17, s1, s21
	s_add_u32 s0, s8, s20
	s_addc_u32 s1, s9, s21
	v_cmp_gt_i32_e32 vcc_lo, s18, v2
	s_load_dwordx2 s[8:9], s[0:1], 0x0
	v_cmp_eq_u32_e64 s0, 0, v1
	s_and_b32 s0, s0, vcc_lo
	s_and_saveexec_b32 s1, s0
	s_cbranch_execz .LBB54_2
; %bb.1:
	v_ashrrev_i32_e32 v5, 31, v2
	v_mul_lo_u32 v6, s15, v2
	v_mad_u64_u32 v[3:4], null, s14, v2, 0
	s_lshl_b64 s[6:7], s[10:11], 2
	v_mul_lo_u32 v5, s14, v5
	s_waitcnt lgkmcnt(0)
	s_add_u32 s0, s8, s6
	s_addc_u32 s6, s9, s7
	v_add3_u32 v4, v4, v5, v6
	v_lshlrev_b64 v[3:4], 2, v[3:4]
	v_add_co_u32 v3, s0, s0, v3
	v_add_co_ci_u32_e64 v4, null, s6, v4, s0
	flat_load_dword v7, v[3:4]
.LBB54_2:
	s_or_b32 exec_lo, exec_lo, s1
	s_load_dword s13, s[4:5], 0x6c
	s_mov_b32 s19, exec_lo
	v_cmpx_gt_i32_e64 s18, v1
	s_cbranch_execz .LBB54_8
; %bb.3:
	s_load_dwordx2 s[6:7], s[4:5], 0x18
	v_mad_u64_u32 v[8:9], null, s14, v1, 0
	s_load_dwordx2 s[16:17], s[16:17], 0x0
	s_lshl_b64 s[0:1], s[10:11], 2
	s_waitcnt lgkmcnt(0)
	s_add_u32 s8, s8, s0
	s_addc_u32 s9, s9, s1
	s_lshl_b64 s[0:1], s[2:3], 2
	s_lshl_b64 s[2:3], s[14:15], 6
	v_mad_u64_u32 v[4:5], null, s6, v1, 0
	v_mov_b32_e32 v3, v5
	v_mad_u64_u32 v[5:6], null, s7, v1, v[3:4]
	v_mov_b32_e32 v3, v9
	s_lshl_b64 s[6:7], s[6:7], 6
	v_mad_u64_u32 v[9:10], null, s15, v1, v[3:4]
	v_ashrrev_i32_e32 v3, 31, v2
	v_lshlrev_b64 v[4:5], 2, v[4:5]
	v_lshlrev_b64 v[10:11], 2, v[2:3]
	v_add_co_u32 v6, s0, v4, s0
	v_add_co_ci_u32_e64 v5, null, s1, v5, s0
	v_lshlrev_b64 v[3:4], 2, v[8:9]
	v_add_co_u32 v6, s0, v6, v10
	v_add_co_ci_u32_e64 v8, null, v5, v11, s0
	v_add_co_u32 v3, s0, s8, v3
	v_add_co_ci_u32_e64 v4, null, s9, v4, s0
	;; [unrolled: 2-line block ×3, first 2 shown]
	v_mov_b32_e32 v8, v1
	s_mov_b32 s8, 0
	s_inst_prefetch 0x1
	s_branch .LBB54_5
	.p2align	6
.LBB54_4:                               ;   in Loop: Header=BB54_5 Depth=1
	s_or_b32 exec_lo, exec_lo, s0
	v_add_nc_u32_e32 v8, 16, v8
	v_add_co_u32 v3, s0, v3, s2
	v_add_co_ci_u32_e64 v4, null, s3, v4, s0
	v_cmp_le_i32_e64 s0, s18, v8
	v_add_co_u32 v5, s1, v5, s6
	v_add_co_ci_u32_e64 v6, null, s7, v6, s1
	s_or_b32 s8, s0, s8
	s_andn2_b32 exec_lo, exec_lo, s8
	s_cbranch_execz .LBB54_7
.LBB54_5:                               ; =>This Inner Loop Header: Depth=1
	v_cmp_lt_i32_e64 s0, v8, v2
	s_and_b32 s1, vcc_lo, s0
	s_and_saveexec_b32 s0, s1
	s_cbranch_execz .LBB54_4
; %bb.6:                                ;   in Loop: Header=BB54_5 Depth=1
	flat_load_dword v9, v[5:6]
	flat_load_dword v10, v[3:4]
	s_waitcnt vmcnt(0) lgkmcnt(0)
	v_fmac_f32_e32 v7, v9, v10
	s_branch .LBB54_4
.LBB54_7:
	s_inst_prefetch 0x2
	s_or_b32 exec_lo, exec_lo, s8
.LBB54_8:
	s_or_b32 exec_lo, exec_lo, s19
	v_lshlrev_b32_e32 v3, 2, v0
	s_waitcnt lgkmcnt(0)
	s_and_b32 s1, 0xffff, s13
	s_mov_b32 s2, exec_lo
	v_mad_u32_u24 v0, v1, s1, v0
	v_lshl_add_u32 v4, v1, 8, v3
	s_waitcnt vmcnt(0)
	ds_write_b32 v4, v7
	s_waitcnt lgkmcnt(0)
	s_barrier
	buffer_gl0_inv
	v_cmpx_gt_u32_e32 64, v0
	s_cbranch_execz .LBB54_11
; %bb.9:
	v_mul_u32_u24_e32 v0, s1, v1
	v_lshl_add_u32 v9, v0, 2, v3
	ds_read2st64_b32 v[0:1], v9 offset1:1
	ds_read2st64_b32 v[3:4], v9 offset0:2 offset1:3
	ds_read2st64_b32 v[5:6], v9 offset0:4 offset1:5
	;; [unrolled: 1-line block ×3, first 2 shown]
	s_waitcnt lgkmcnt(3)
	v_add_f32_e32 v0, v0, v1
	s_waitcnt lgkmcnt(2)
	v_add_f32_e32 v0, v3, v0
	v_add_f32_e32 v0, v4, v0
	s_waitcnt lgkmcnt(1)
	v_add_f32_e32 v3, v5, v0
	ds_read2st64_b32 v[0:1], v9 offset0:8 offset1:9
	v_add_f32_e32 v3, v6, v3
	s_waitcnt lgkmcnt(1)
	v_add_f32_e32 v5, v7, v3
	ds_read2st64_b32 v[3:4], v9 offset0:10 offset1:11
	v_add_f32_e32 v10, v8, v5
	ds_read2st64_b32 v[5:6], v9 offset0:12 offset1:13
	ds_read2st64_b32 v[7:8], v9 offset0:14 offset1:15
	s_waitcnt lgkmcnt(3)
	v_add_f32_e32 v0, v0, v10
	v_add_f32_e32 v0, v1, v0
	s_waitcnt lgkmcnt(2)
	v_add_f32_e32 v0, v3, v0
	v_add_f32_e32 v0, v4, v0
	;; [unrolled: 3-line block ×4, first 2 shown]
	ds_write_b32 v9, v0
	s_and_b32 exec_lo, exec_lo, vcc_lo
	s_cbranch_execz .LBB54_11
; %bb.10:
	s_load_dwordx4 s[0:3], s[4:5], 0x48
	v_ashrrev_i32_e32 v3, 31, v2
	v_lshlrev_b64 v[1:2], 2, v[2:3]
	s_waitcnt lgkmcnt(0)
	s_mul_i32 s3, s3, s12
	s_mul_hi_u32 s4, s2, s12
	s_mul_i32 s2, s2, s12
	s_add_i32 s3, s4, s3
	s_lshl_b64 s[2:3], s[2:3], 2
	s_add_u32 s0, s0, s2
	s_addc_u32 s1, s1, s3
	v_add_co_u32 v1, vcc_lo, s0, v1
	v_add_co_ci_u32_e64 v2, null, s1, v2, vcc_lo
	global_store_dword v[1:2], v0, off
.LBB54_11:
	s_endpgm
	.section	.rodata,"a",@progbits
	.p2align	6, 0x0
	.amdhsa_kernel _ZL20rocblas_trmvn_kernelILi64ELi16ELb1ELb1EPKPKfPKPfS4_EviT3_lllT4_lllT5_li
		.amdhsa_group_segment_fixed_size 4096
		.amdhsa_private_segment_fixed_size 0
		.amdhsa_kernarg_size 352
		.amdhsa_user_sgpr_count 6
		.amdhsa_user_sgpr_private_segment_buffer 1
		.amdhsa_user_sgpr_dispatch_ptr 0
		.amdhsa_user_sgpr_queue_ptr 0
		.amdhsa_user_sgpr_kernarg_segment_ptr 1
		.amdhsa_user_sgpr_dispatch_id 0
		.amdhsa_user_sgpr_flat_scratch_init 0
		.amdhsa_user_sgpr_private_segment_size 0
		.amdhsa_wavefront_size32 1
		.amdhsa_uses_dynamic_stack 0
		.amdhsa_system_sgpr_private_segment_wavefront_offset 0
		.amdhsa_system_sgpr_workgroup_id_x 1
		.amdhsa_system_sgpr_workgroup_id_y 0
		.amdhsa_system_sgpr_workgroup_id_z 1
		.amdhsa_system_sgpr_workgroup_info 0
		.amdhsa_system_vgpr_workitem_id 1
		.amdhsa_next_free_vgpr 12
		.amdhsa_next_free_sgpr 22
		.amdhsa_reserve_vcc 1
		.amdhsa_reserve_flat_scratch 0
		.amdhsa_float_round_mode_32 0
		.amdhsa_float_round_mode_16_64 0
		.amdhsa_float_denorm_mode_32 3
		.amdhsa_float_denorm_mode_16_64 3
		.amdhsa_dx10_clamp 1
		.amdhsa_ieee_mode 1
		.amdhsa_fp16_overflow 0
		.amdhsa_workgroup_processor_mode 1
		.amdhsa_memory_ordered 1
		.amdhsa_forward_progress 1
		.amdhsa_shared_vgpr_count 0
		.amdhsa_exception_fp_ieee_invalid_op 0
		.amdhsa_exception_fp_denorm_src 0
		.amdhsa_exception_fp_ieee_div_zero 0
		.amdhsa_exception_fp_ieee_overflow 0
		.amdhsa_exception_fp_ieee_underflow 0
		.amdhsa_exception_fp_ieee_inexact 0
		.amdhsa_exception_int_div_zero 0
	.end_amdhsa_kernel
	.section	.text._ZL20rocblas_trmvn_kernelILi64ELi16ELb1ELb1EPKPKfPKPfS4_EviT3_lllT4_lllT5_li,"axG",@progbits,_ZL20rocblas_trmvn_kernelILi64ELi16ELb1ELb1EPKPKfPKPfS4_EviT3_lllT4_lllT5_li,comdat
.Lfunc_end54:
	.size	_ZL20rocblas_trmvn_kernelILi64ELi16ELb1ELb1EPKPKfPKPfS4_EviT3_lllT4_lllT5_li, .Lfunc_end54-_ZL20rocblas_trmvn_kernelILi64ELi16ELb1ELb1EPKPKfPKPfS4_EviT3_lllT4_lllT5_li
                                        ; -- End function
	.set _ZL20rocblas_trmvn_kernelILi64ELi16ELb1ELb1EPKPKfPKPfS4_EviT3_lllT4_lllT5_li.num_vgpr, 12
	.set _ZL20rocblas_trmvn_kernelILi64ELi16ELb1ELb1EPKPKfPKPfS4_EviT3_lllT4_lllT5_li.num_agpr, 0
	.set _ZL20rocblas_trmvn_kernelILi64ELi16ELb1ELb1EPKPKfPKPfS4_EviT3_lllT4_lllT5_li.numbered_sgpr, 22
	.set _ZL20rocblas_trmvn_kernelILi64ELi16ELb1ELb1EPKPKfPKPfS4_EviT3_lllT4_lllT5_li.num_named_barrier, 0
	.set _ZL20rocblas_trmvn_kernelILi64ELi16ELb1ELb1EPKPKfPKPfS4_EviT3_lllT4_lllT5_li.private_seg_size, 0
	.set _ZL20rocblas_trmvn_kernelILi64ELi16ELb1ELb1EPKPKfPKPfS4_EviT3_lllT4_lllT5_li.uses_vcc, 1
	.set _ZL20rocblas_trmvn_kernelILi64ELi16ELb1ELb1EPKPKfPKPfS4_EviT3_lllT4_lllT5_li.uses_flat_scratch, 0
	.set _ZL20rocblas_trmvn_kernelILi64ELi16ELb1ELb1EPKPKfPKPfS4_EviT3_lllT4_lllT5_li.has_dyn_sized_stack, 0
	.set _ZL20rocblas_trmvn_kernelILi64ELi16ELb1ELb1EPKPKfPKPfS4_EviT3_lllT4_lllT5_li.has_recursion, 0
	.set _ZL20rocblas_trmvn_kernelILi64ELi16ELb1ELb1EPKPKfPKPfS4_EviT3_lllT4_lllT5_li.has_indirect_call, 0
	.section	.AMDGPU.csdata,"",@progbits
; Kernel info:
; codeLenInByte = 904
; TotalNumSgprs: 24
; NumVgprs: 12
; ScratchSize: 0
; MemoryBound: 0
; FloatMode: 240
; IeeeMode: 1
; LDSByteSize: 4096 bytes/workgroup (compile time only)
; SGPRBlocks: 0
; VGPRBlocks: 1
; NumSGPRsForWavesPerEU: 24
; NumVGPRsForWavesPerEU: 12
; Occupancy: 16
; WaveLimiterHint : 1
; COMPUTE_PGM_RSRC2:SCRATCH_EN: 0
; COMPUTE_PGM_RSRC2:USER_SGPR: 6
; COMPUTE_PGM_RSRC2:TRAP_HANDLER: 0
; COMPUTE_PGM_RSRC2:TGID_X_EN: 1
; COMPUTE_PGM_RSRC2:TGID_Y_EN: 0
; COMPUTE_PGM_RSRC2:TGID_Z_EN: 1
; COMPUTE_PGM_RSRC2:TIDIG_COMP_CNT: 1
	.section	.text._ZL20rocblas_trmvt_kernelILi512ELb1ELb0ELb1EPKPKfPKPfS4_EviT3_lllT4_lllT5_li,"axG",@progbits,_ZL20rocblas_trmvt_kernelILi512ELb1ELb0ELb1EPKPKfPKPfS4_EviT3_lllT4_lllT5_li,comdat
	.globl	_ZL20rocblas_trmvt_kernelILi512ELb1ELb0ELb1EPKPKfPKPfS4_EviT3_lllT4_lllT5_li ; -- Begin function _ZL20rocblas_trmvt_kernelILi512ELb1ELb0ELb1EPKPKfPKPfS4_EviT3_lllT4_lllT5_li
	.p2align	8
	.type	_ZL20rocblas_trmvt_kernelILi512ELb1ELb0ELb1EPKPKfPKPfS4_EviT3_lllT4_lllT5_li,@function
_ZL20rocblas_trmvt_kernelILi512ELb1ELb0ELb1EPKPKfPKPfS4_EviT3_lllT4_lllT5_li: ; @_ZL20rocblas_trmvt_kernelILi512ELb1ELb0ELb1EPKPKfPKPfS4_EviT3_lllT4_lllT5_li
; %bb.0:
	s_clause 0x1
	s_load_dwordx4 s[8:11], s[4:5], 0x8
	s_load_dwordx4 s[0:3], s[4:5], 0x28
	s_mov_b32 s12, s7
	s_mov_b32 s13, 0
	v_cmp_eq_u32_e32 vcc_lo, 0, v0
	s_lshl_b64 s[14:15], s[12:13], 3
	v_mov_b32_e32 v5, 0
	s_waitcnt lgkmcnt(0)
	s_add_u32 s16, s8, s14
	s_addc_u32 s17, s9, s15
	s_add_u32 s0, s0, s14
	s_addc_u32 s1, s1, s15
	s_load_dwordx2 s[8:9], s[4:5], 0x38
	s_load_dwordx2 s[14:15], s[0:1], 0x0
	s_ashr_i32 s7, s6, 31
	s_and_saveexec_b32 s0, vcc_lo
	s_cbranch_execz .LBB55_2
; %bb.1:
	s_lshl_b64 s[18:19], s[2:3], 2
	s_waitcnt lgkmcnt(0)
	s_mul_i32 s1, s8, s7
	s_add_u32 s13, s14, s18
	s_mul_hi_u32 s18, s8, s6
	s_addc_u32 s20, s15, s19
	s_add_i32 s1, s18, s1
	s_mul_i32 s18, s9, s6
	s_add_i32 s19, s1, s18
	s_mul_i32 s18, s8, s6
	s_lshl_b64 s[18:19], s[18:19], 2
	s_add_u32 s18, s13, s18
	s_addc_u32 s19, s20, s19
	v_mov_b32_e32 v1, s18
	v_mov_b32_e32 v2, s19
	flat_load_dword v1, v[1:2]
	s_waitcnt vmcnt(0) lgkmcnt(0)
	v_add_f32_e32 v5, 0, v1
.LBB55_2:
	s_or_b32 exec_lo, exec_lo, s0
	s_load_dword s18, s[4:5], 0x0
	s_waitcnt lgkmcnt(0)
	v_cmp_gt_i32_e64 s0, s18, v0
	s_and_saveexec_b32 s13, s0
	s_cbranch_execz .LBB55_8
; %bb.3:
	s_load_dwordx2 s[16:17], s[16:17], 0x0
	s_load_dwordx2 s[20:21], s[4:5], 0x18
	v_mad_u64_u32 v[1:2], null, s8, v0, 0
	v_cndmask_b32_e64 v4, 0, v0, s0
	s_lshl_b64 s[0:1], s[10:11], 2
	v_mad_u64_u32 v[2:3], null, s9, v0, v[2:3]
	v_lshlrev_b32_e32 v3, 2, v4
	s_waitcnt lgkmcnt(0)
	s_add_u32 s10, s16, s0
	s_mul_i32 s11, s20, s7
	s_mul_hi_u32 s16, s20, s6
	s_mul_i32 s19, s21, s6
	s_addc_u32 s17, s17, s1
	s_add_i32 s1, s16, s11
	v_add_co_u32 v6, s10, s10, v3
	s_mul_i32 s0, s20, s6
	s_add_i32 s1, s1, s19
	v_add_co_ci_u32_e64 v7, null, s17, 0, s10
	s_lshl_b64 s[0:1], s[0:1], 2
	v_lshlrev_b64 v[3:4], 2, v[1:2]
	s_lshl_b64 s[2:3], s[2:3], 2
	v_add_co_u32 v1, s0, v6, s0
	v_add_co_ci_u32_e64 v2, null, s1, v7, s0
	s_add_u32 s0, s14, s2
	s_addc_u32 s1, s15, s3
	v_add_co_u32 v3, s0, s0, v3
	v_add_co_ci_u32_e64 v4, null, s1, v4, s0
	v_mov_b32_e32 v6, v0
	s_mov_b32 s10, 0
	s_lshl_b64 s[2:3], s[8:9], 11
	s_inst_prefetch 0x1
	s_branch .LBB55_5
	.p2align	6
.LBB55_4:                               ;   in Loop: Header=BB55_5 Depth=1
	s_or_b32 exec_lo, exec_lo, s1
	v_add_nc_u32_e32 v6, 0x200, v6
	v_add_co_u32 v1, s0, 0x800, v1
	v_add_co_ci_u32_e64 v2, null, 0, v2, s0
	v_cmp_le_i32_e64 s0, s18, v6
	v_add_co_u32 v3, s1, v3, s2
	v_add_co_ci_u32_e64 v4, null, s3, v4, s1
	s_or_b32 s10, s0, s10
	s_andn2_b32 exec_lo, exec_lo, s10
	s_cbranch_execz .LBB55_7
.LBB55_5:                               ; =>This Inner Loop Header: Depth=1
	s_mov_b32 s1, exec_lo
	v_cmpx_lt_i32_e64 s6, v6
	s_cbranch_execz .LBB55_4
; %bb.6:                                ;   in Loop: Header=BB55_5 Depth=1
	flat_load_dword v7, v[1:2]
	flat_load_dword v8, v[3:4]
	s_waitcnt vmcnt(0) lgkmcnt(0)
	v_fmac_f32_e32 v5, v7, v8
	s_branch .LBB55_4
.LBB55_7:
	s_inst_prefetch 0x2
	s_or_b32 exec_lo, exec_lo, s10
.LBB55_8:
	s_or_b32 exec_lo, exec_lo, s13
	v_and_b32_e32 v6, 31, v0
	v_cmp_gt_u32_e64 s0, 32, v0
	v_lshlrev_b32_e32 v1, 2, v6
	s_and_saveexec_b32 s1, s0
; %bb.9:
	v_mov_b32_e32 v2, 0
	ds_write_b32 v1, v2
; %bb.10:
	s_or_b32 exec_lo, exec_lo, s1
	v_mbcnt_lo_u32_b32 v7, -1, 0
	s_mov_b32 s2, exec_lo
	s_waitcnt lgkmcnt(0)
	s_barrier
	buffer_gl0_inv
	v_lshl_or_b32 v2, v7, 2, 64
	v_cmp_gt_u32_e64 s1, 24, v7
	ds_bpermute_b32 v3, v2, v5
	v_cndmask_b32_e64 v2, 0, 8, s1
	v_cmp_gt_u32_e64 s1, 28, v7
	v_add_lshl_u32 v2, v2, v7, 2
	s_waitcnt lgkmcnt(0)
	v_add_f32_e32 v4, v5, v3
	v_cndmask_b32_e64 v3, 0, 4, s1
	v_cmp_gt_u32_e64 s1, 30, v7
	ds_bpermute_b32 v5, v2, v4
	v_add_lshl_u32 v3, v3, v7, 2
	s_waitcnt lgkmcnt(0)
	v_add_f32_e32 v5, v4, v5
	v_cndmask_b32_e64 v4, 0, 2, s1
	v_cmp_ne_u32_e64 s1, 31, v7
	ds_bpermute_b32 v8, v3, v5
	v_add_lshl_u32 v4, v4, v7, 2
	v_add_co_ci_u32_e64 v9, null, 0, v7, s1
	s_waitcnt lgkmcnt(0)
	v_add_f32_e32 v5, v5, v8
	ds_bpermute_b32 v8, v4, v5
	s_waitcnt lgkmcnt(0)
	v_add_f32_e32 v7, v5, v8
	v_lshlrev_b32_e32 v5, 2, v9
	ds_bpermute_b32 v8, v5, v7
	v_cmpx_eq_u32_e32 0, v6
	s_cbranch_execz .LBB55_12
; %bb.11:
	v_lshrrev_b32_e32 v6, 3, v0
	s_waitcnt lgkmcnt(0)
	v_add_f32_e32 v7, v7, v8
	v_and_b32_e32 v6, 60, v6
	ds_write_b32 v6, v7
.LBB55_12:
	s_or_b32 exec_lo, exec_lo, s2
	v_cmp_gt_u32_e64 s1, 16, v0
	v_mov_b32_e32 v0, 0
	s_waitcnt lgkmcnt(0)
	s_barrier
	buffer_gl0_inv
	s_and_saveexec_b32 s2, s1
	s_cbranch_execnz .LBB55_16
; %bb.13:
	s_or_b32 exec_lo, exec_lo, s2
	s_and_saveexec_b32 s1, s0
	s_cbranch_execnz .LBB55_17
.LBB55_14:
	s_or_b32 exec_lo, exec_lo, s1
	s_and_saveexec_b32 s0, vcc_lo
	s_cbranch_execnz .LBB55_18
.LBB55_15:
	s_endpgm
.LBB55_16:
	ds_read_b32 v0, v1
	s_or_b32 exec_lo, exec_lo, s2
	s_and_saveexec_b32 s1, s0
	s_cbranch_execz .LBB55_14
.LBB55_17:
	s_waitcnt lgkmcnt(0)
	ds_bpermute_b32 v1, v2, v0
	s_waitcnt lgkmcnt(0)
	v_add_f32_e32 v0, v0, v1
	ds_bpermute_b32 v1, v3, v0
	s_waitcnt lgkmcnt(0)
	v_add_f32_e32 v0, v0, v1
	;; [unrolled: 3-line block ×4, first 2 shown]
	s_or_b32 exec_lo, exec_lo, s1
	s_and_saveexec_b32 s0, vcc_lo
	s_cbranch_execz .LBB55_15
.LBB55_18:
	s_load_dwordx4 s[0:3], s[4:5], 0x48
	v_mov_b32_e32 v1, 0
	s_waitcnt lgkmcnt(0)
	s_mul_i32 s3, s3, s12
	s_mul_hi_u32 s4, s2, s12
	s_mul_i32 s2, s2, s12
	s_add_i32 s3, s4, s3
	s_lshl_b64 s[2:3], s[2:3], 2
	s_add_u32 s2, s0, s2
	s_addc_u32 s3, s1, s3
	s_lshl_b64 s[0:1], s[6:7], 2
	s_add_u32 s0, s2, s0
	s_addc_u32 s1, s3, s1
	global_store_dword v1, v0, s[0:1]
	s_endpgm
	.section	.rodata,"a",@progbits
	.p2align	6, 0x0
	.amdhsa_kernel _ZL20rocblas_trmvt_kernelILi512ELb1ELb0ELb1EPKPKfPKPfS4_EviT3_lllT4_lllT5_li
		.amdhsa_group_segment_fixed_size 128
		.amdhsa_private_segment_fixed_size 0
		.amdhsa_kernarg_size 92
		.amdhsa_user_sgpr_count 6
		.amdhsa_user_sgpr_private_segment_buffer 1
		.amdhsa_user_sgpr_dispatch_ptr 0
		.amdhsa_user_sgpr_queue_ptr 0
		.amdhsa_user_sgpr_kernarg_segment_ptr 1
		.amdhsa_user_sgpr_dispatch_id 0
		.amdhsa_user_sgpr_flat_scratch_init 0
		.amdhsa_user_sgpr_private_segment_size 0
		.amdhsa_wavefront_size32 1
		.amdhsa_uses_dynamic_stack 0
		.amdhsa_system_sgpr_private_segment_wavefront_offset 0
		.amdhsa_system_sgpr_workgroup_id_x 1
		.amdhsa_system_sgpr_workgroup_id_y 0
		.amdhsa_system_sgpr_workgroup_id_z 1
		.amdhsa_system_sgpr_workgroup_info 0
		.amdhsa_system_vgpr_workitem_id 0
		.amdhsa_next_free_vgpr 10
		.amdhsa_next_free_sgpr 22
		.amdhsa_reserve_vcc 1
		.amdhsa_reserve_flat_scratch 0
		.amdhsa_float_round_mode_32 0
		.amdhsa_float_round_mode_16_64 0
		.amdhsa_float_denorm_mode_32 3
		.amdhsa_float_denorm_mode_16_64 3
		.amdhsa_dx10_clamp 1
		.amdhsa_ieee_mode 1
		.amdhsa_fp16_overflow 0
		.amdhsa_workgroup_processor_mode 1
		.amdhsa_memory_ordered 1
		.amdhsa_forward_progress 1
		.amdhsa_shared_vgpr_count 0
		.amdhsa_exception_fp_ieee_invalid_op 0
		.amdhsa_exception_fp_denorm_src 0
		.amdhsa_exception_fp_ieee_div_zero 0
		.amdhsa_exception_fp_ieee_overflow 0
		.amdhsa_exception_fp_ieee_underflow 0
		.amdhsa_exception_fp_ieee_inexact 0
		.amdhsa_exception_int_div_zero 0
	.end_amdhsa_kernel
	.section	.text._ZL20rocblas_trmvt_kernelILi512ELb1ELb0ELb1EPKPKfPKPfS4_EviT3_lllT4_lllT5_li,"axG",@progbits,_ZL20rocblas_trmvt_kernelILi512ELb1ELb0ELb1EPKPKfPKPfS4_EviT3_lllT4_lllT5_li,comdat
.Lfunc_end55:
	.size	_ZL20rocblas_trmvt_kernelILi512ELb1ELb0ELb1EPKPKfPKPfS4_EviT3_lllT4_lllT5_li, .Lfunc_end55-_ZL20rocblas_trmvt_kernelILi512ELb1ELb0ELb1EPKPKfPKPfS4_EviT3_lllT4_lllT5_li
                                        ; -- End function
	.set _ZL20rocblas_trmvt_kernelILi512ELb1ELb0ELb1EPKPKfPKPfS4_EviT3_lllT4_lllT5_li.num_vgpr, 10
	.set _ZL20rocblas_trmvt_kernelILi512ELb1ELb0ELb1EPKPKfPKPfS4_EviT3_lllT4_lllT5_li.num_agpr, 0
	.set _ZL20rocblas_trmvt_kernelILi512ELb1ELb0ELb1EPKPKfPKPfS4_EviT3_lllT4_lllT5_li.numbered_sgpr, 22
	.set _ZL20rocblas_trmvt_kernelILi512ELb1ELb0ELb1EPKPKfPKPfS4_EviT3_lllT4_lllT5_li.num_named_barrier, 0
	.set _ZL20rocblas_trmvt_kernelILi512ELb1ELb0ELb1EPKPKfPKPfS4_EviT3_lllT4_lllT5_li.private_seg_size, 0
	.set _ZL20rocblas_trmvt_kernelILi512ELb1ELb0ELb1EPKPKfPKPfS4_EviT3_lllT4_lllT5_li.uses_vcc, 1
	.set _ZL20rocblas_trmvt_kernelILi512ELb1ELb0ELb1EPKPKfPKPfS4_EviT3_lllT4_lllT5_li.uses_flat_scratch, 0
	.set _ZL20rocblas_trmvt_kernelILi512ELb1ELb0ELb1EPKPKfPKPfS4_EviT3_lllT4_lllT5_li.has_dyn_sized_stack, 0
	.set _ZL20rocblas_trmvt_kernelILi512ELb1ELb0ELb1EPKPKfPKPfS4_EviT3_lllT4_lllT5_li.has_recursion, 0
	.set _ZL20rocblas_trmvt_kernelILi512ELb1ELb0ELb1EPKPKfPKPfS4_EviT3_lllT4_lllT5_li.has_indirect_call, 0
	.section	.AMDGPU.csdata,"",@progbits
; Kernel info:
; codeLenInByte = 1012
; TotalNumSgprs: 24
; NumVgprs: 10
; ScratchSize: 0
; MemoryBound: 0
; FloatMode: 240
; IeeeMode: 1
; LDSByteSize: 128 bytes/workgroup (compile time only)
; SGPRBlocks: 0
; VGPRBlocks: 1
; NumSGPRsForWavesPerEU: 24
; NumVGPRsForWavesPerEU: 10
; Occupancy: 16
; WaveLimiterHint : 1
; COMPUTE_PGM_RSRC2:SCRATCH_EN: 0
; COMPUTE_PGM_RSRC2:USER_SGPR: 6
; COMPUTE_PGM_RSRC2:TRAP_HANDLER: 0
; COMPUTE_PGM_RSRC2:TGID_X_EN: 1
; COMPUTE_PGM_RSRC2:TGID_Y_EN: 0
; COMPUTE_PGM_RSRC2:TGID_Z_EN: 1
; COMPUTE_PGM_RSRC2:TIDIG_COMP_CNT: 0
	.section	.text._ZL20rocblas_trmvt_kernelILi512ELb1ELb1ELb1EPKPKfPKPfS4_EviT3_lllT4_lllT5_li,"axG",@progbits,_ZL20rocblas_trmvt_kernelILi512ELb1ELb1ELb1EPKPKfPKPfS4_EviT3_lllT4_lllT5_li,comdat
	.globl	_ZL20rocblas_trmvt_kernelILi512ELb1ELb1ELb1EPKPKfPKPfS4_EviT3_lllT4_lllT5_li ; -- Begin function _ZL20rocblas_trmvt_kernelILi512ELb1ELb1ELb1EPKPKfPKPfS4_EviT3_lllT4_lllT5_li
	.p2align	8
	.type	_ZL20rocblas_trmvt_kernelILi512ELb1ELb1ELb1EPKPKfPKPfS4_EviT3_lllT4_lllT5_li,@function
_ZL20rocblas_trmvt_kernelILi512ELb1ELb1ELb1EPKPKfPKPfS4_EviT3_lllT4_lllT5_li: ; @_ZL20rocblas_trmvt_kernelILi512ELb1ELb1ELb1EPKPKfPKPfS4_EviT3_lllT4_lllT5_li
; %bb.0:
	s_clause 0x1
	s_load_dwordx4 s[8:11], s[4:5], 0x8
	s_load_dwordx4 s[0:3], s[4:5], 0x28
	s_mov_b32 s12, s7
	s_mov_b32 s13, 0
	v_cmp_eq_u32_e32 vcc_lo, 0, v0
	s_lshl_b64 s[14:15], s[12:13], 3
	v_mov_b32_e32 v5, 0
	s_waitcnt lgkmcnt(0)
	s_add_u32 s16, s8, s14
	s_addc_u32 s17, s9, s15
	s_add_u32 s0, s0, s14
	s_addc_u32 s1, s1, s15
	s_load_dwordx2 s[8:9], s[4:5], 0x38
	s_load_dwordx2 s[14:15], s[0:1], 0x0
	s_ashr_i32 s7, s6, 31
	s_and_saveexec_b32 s0, vcc_lo
	s_cbranch_execz .LBB56_2
; %bb.1:
	s_lshl_b64 s[18:19], s[2:3], 2
	s_waitcnt lgkmcnt(0)
	s_mul_i32 s1, s8, s7
	s_add_u32 s13, s14, s18
	s_mul_hi_u32 s18, s8, s6
	s_addc_u32 s20, s15, s19
	s_add_i32 s1, s18, s1
	s_mul_i32 s18, s9, s6
	s_add_i32 s19, s1, s18
	s_mul_i32 s18, s8, s6
	s_lshl_b64 s[18:19], s[18:19], 2
	s_add_u32 s18, s13, s18
	s_addc_u32 s19, s20, s19
	v_mov_b32_e32 v1, s18
	v_mov_b32_e32 v2, s19
	flat_load_dword v1, v[1:2]
	s_waitcnt vmcnt(0) lgkmcnt(0)
	v_add_f32_e32 v5, 0, v1
.LBB56_2:
	s_or_b32 exec_lo, exec_lo, s0
	s_load_dword s18, s[4:5], 0x0
	s_waitcnt lgkmcnt(0)
	v_cmp_gt_i32_e64 s0, s18, v0
	s_and_saveexec_b32 s13, s0
	s_cbranch_execz .LBB56_8
; %bb.3:
	s_load_dwordx2 s[16:17], s[16:17], 0x0
	s_load_dwordx2 s[20:21], s[4:5], 0x18
	v_mad_u64_u32 v[1:2], null, s8, v0, 0
	v_cndmask_b32_e64 v4, 0, v0, s0
	s_lshl_b64 s[0:1], s[10:11], 2
	v_mad_u64_u32 v[2:3], null, s9, v0, v[2:3]
	v_lshlrev_b32_e32 v3, 2, v4
	s_waitcnt lgkmcnt(0)
	s_add_u32 s10, s16, s0
	s_mul_i32 s11, s20, s7
	s_mul_hi_u32 s16, s20, s6
	s_mul_i32 s19, s21, s6
	s_addc_u32 s17, s17, s1
	s_add_i32 s1, s16, s11
	v_add_co_u32 v6, s10, s10, v3
	s_mul_i32 s0, s20, s6
	s_add_i32 s1, s1, s19
	v_add_co_ci_u32_e64 v7, null, s17, 0, s10
	s_lshl_b64 s[0:1], s[0:1], 2
	v_lshlrev_b64 v[3:4], 2, v[1:2]
	s_lshl_b64 s[2:3], s[2:3], 2
	v_add_co_u32 v1, s0, v6, s0
	v_add_co_ci_u32_e64 v2, null, s1, v7, s0
	s_add_u32 s0, s14, s2
	s_addc_u32 s1, s15, s3
	v_add_co_u32 v3, s0, s0, v3
	v_add_co_ci_u32_e64 v4, null, s1, v4, s0
	v_mov_b32_e32 v6, v0
	s_mov_b32 s10, 0
	s_lshl_b64 s[2:3], s[8:9], 11
	s_inst_prefetch 0x1
	s_branch .LBB56_5
	.p2align	6
.LBB56_4:                               ;   in Loop: Header=BB56_5 Depth=1
	s_or_b32 exec_lo, exec_lo, s1
	v_add_nc_u32_e32 v6, 0x200, v6
	v_add_co_u32 v1, s0, 0x800, v1
	v_add_co_ci_u32_e64 v2, null, 0, v2, s0
	v_cmp_le_i32_e64 s0, s18, v6
	v_add_co_u32 v3, s1, v3, s2
	v_add_co_ci_u32_e64 v4, null, s3, v4, s1
	s_or_b32 s10, s0, s10
	s_andn2_b32 exec_lo, exec_lo, s10
	s_cbranch_execz .LBB56_7
.LBB56_5:                               ; =>This Inner Loop Header: Depth=1
	s_mov_b32 s1, exec_lo
	v_cmpx_lt_i32_e64 s6, v6
	s_cbranch_execz .LBB56_4
; %bb.6:                                ;   in Loop: Header=BB56_5 Depth=1
	flat_load_dword v7, v[1:2]
	flat_load_dword v8, v[3:4]
	s_waitcnt vmcnt(0) lgkmcnt(0)
	v_fmac_f32_e32 v5, v7, v8
	s_branch .LBB56_4
.LBB56_7:
	s_inst_prefetch 0x2
	s_or_b32 exec_lo, exec_lo, s10
.LBB56_8:
	s_or_b32 exec_lo, exec_lo, s13
	v_and_b32_e32 v6, 31, v0
	v_cmp_gt_u32_e64 s0, 32, v0
	v_lshlrev_b32_e32 v1, 2, v6
	s_and_saveexec_b32 s1, s0
; %bb.9:
	v_mov_b32_e32 v2, 0
	ds_write_b32 v1, v2
; %bb.10:
	s_or_b32 exec_lo, exec_lo, s1
	v_mbcnt_lo_u32_b32 v7, -1, 0
	s_mov_b32 s2, exec_lo
	s_waitcnt lgkmcnt(0)
	s_barrier
	buffer_gl0_inv
	v_lshl_or_b32 v2, v7, 2, 64
	v_cmp_gt_u32_e64 s1, 24, v7
	ds_bpermute_b32 v3, v2, v5
	v_cndmask_b32_e64 v2, 0, 8, s1
	v_cmp_gt_u32_e64 s1, 28, v7
	v_add_lshl_u32 v2, v2, v7, 2
	s_waitcnt lgkmcnt(0)
	v_add_f32_e32 v4, v5, v3
	v_cndmask_b32_e64 v3, 0, 4, s1
	v_cmp_gt_u32_e64 s1, 30, v7
	ds_bpermute_b32 v5, v2, v4
	v_add_lshl_u32 v3, v3, v7, 2
	s_waitcnt lgkmcnt(0)
	v_add_f32_e32 v5, v4, v5
	v_cndmask_b32_e64 v4, 0, 2, s1
	v_cmp_ne_u32_e64 s1, 31, v7
	ds_bpermute_b32 v8, v3, v5
	v_add_lshl_u32 v4, v4, v7, 2
	v_add_co_ci_u32_e64 v9, null, 0, v7, s1
	s_waitcnt lgkmcnt(0)
	v_add_f32_e32 v5, v5, v8
	ds_bpermute_b32 v8, v4, v5
	s_waitcnt lgkmcnt(0)
	v_add_f32_e32 v7, v5, v8
	v_lshlrev_b32_e32 v5, 2, v9
	ds_bpermute_b32 v8, v5, v7
	v_cmpx_eq_u32_e32 0, v6
	s_cbranch_execz .LBB56_12
; %bb.11:
	v_lshrrev_b32_e32 v6, 3, v0
	s_waitcnt lgkmcnt(0)
	v_add_f32_e32 v7, v7, v8
	v_and_b32_e32 v6, 60, v6
	ds_write_b32 v6, v7
.LBB56_12:
	s_or_b32 exec_lo, exec_lo, s2
	v_cmp_gt_u32_e64 s1, 16, v0
	v_mov_b32_e32 v0, 0
	s_waitcnt lgkmcnt(0)
	s_barrier
	buffer_gl0_inv
	s_and_saveexec_b32 s2, s1
	s_cbranch_execnz .LBB56_16
; %bb.13:
	s_or_b32 exec_lo, exec_lo, s2
	s_and_saveexec_b32 s1, s0
	s_cbranch_execnz .LBB56_17
.LBB56_14:
	s_or_b32 exec_lo, exec_lo, s1
	s_and_saveexec_b32 s0, vcc_lo
	s_cbranch_execnz .LBB56_18
.LBB56_15:
	s_endpgm
.LBB56_16:
	ds_read_b32 v0, v1
	s_or_b32 exec_lo, exec_lo, s2
	s_and_saveexec_b32 s1, s0
	s_cbranch_execz .LBB56_14
.LBB56_17:
	s_waitcnt lgkmcnt(0)
	ds_bpermute_b32 v1, v2, v0
	s_waitcnt lgkmcnt(0)
	v_add_f32_e32 v0, v0, v1
	ds_bpermute_b32 v1, v3, v0
	s_waitcnt lgkmcnt(0)
	v_add_f32_e32 v0, v0, v1
	;; [unrolled: 3-line block ×4, first 2 shown]
	s_or_b32 exec_lo, exec_lo, s1
	s_and_saveexec_b32 s0, vcc_lo
	s_cbranch_execz .LBB56_15
.LBB56_18:
	s_load_dwordx4 s[0:3], s[4:5], 0x48
	v_mov_b32_e32 v1, 0
	s_waitcnt lgkmcnt(0)
	s_mul_i32 s3, s3, s12
	s_mul_hi_u32 s4, s2, s12
	s_mul_i32 s2, s2, s12
	s_add_i32 s3, s4, s3
	s_lshl_b64 s[2:3], s[2:3], 2
	s_add_u32 s2, s0, s2
	s_addc_u32 s3, s1, s3
	s_lshl_b64 s[0:1], s[6:7], 2
	s_add_u32 s0, s2, s0
	s_addc_u32 s1, s3, s1
	global_store_dword v1, v0, s[0:1]
	s_endpgm
	.section	.rodata,"a",@progbits
	.p2align	6, 0x0
	.amdhsa_kernel _ZL20rocblas_trmvt_kernelILi512ELb1ELb1ELb1EPKPKfPKPfS4_EviT3_lllT4_lllT5_li
		.amdhsa_group_segment_fixed_size 128
		.amdhsa_private_segment_fixed_size 0
		.amdhsa_kernarg_size 92
		.amdhsa_user_sgpr_count 6
		.amdhsa_user_sgpr_private_segment_buffer 1
		.amdhsa_user_sgpr_dispatch_ptr 0
		.amdhsa_user_sgpr_queue_ptr 0
		.amdhsa_user_sgpr_kernarg_segment_ptr 1
		.amdhsa_user_sgpr_dispatch_id 0
		.amdhsa_user_sgpr_flat_scratch_init 0
		.amdhsa_user_sgpr_private_segment_size 0
		.amdhsa_wavefront_size32 1
		.amdhsa_uses_dynamic_stack 0
		.amdhsa_system_sgpr_private_segment_wavefront_offset 0
		.amdhsa_system_sgpr_workgroup_id_x 1
		.amdhsa_system_sgpr_workgroup_id_y 0
		.amdhsa_system_sgpr_workgroup_id_z 1
		.amdhsa_system_sgpr_workgroup_info 0
		.amdhsa_system_vgpr_workitem_id 0
		.amdhsa_next_free_vgpr 10
		.amdhsa_next_free_sgpr 22
		.amdhsa_reserve_vcc 1
		.amdhsa_reserve_flat_scratch 0
		.amdhsa_float_round_mode_32 0
		.amdhsa_float_round_mode_16_64 0
		.amdhsa_float_denorm_mode_32 3
		.amdhsa_float_denorm_mode_16_64 3
		.amdhsa_dx10_clamp 1
		.amdhsa_ieee_mode 1
		.amdhsa_fp16_overflow 0
		.amdhsa_workgroup_processor_mode 1
		.amdhsa_memory_ordered 1
		.amdhsa_forward_progress 1
		.amdhsa_shared_vgpr_count 0
		.amdhsa_exception_fp_ieee_invalid_op 0
		.amdhsa_exception_fp_denorm_src 0
		.amdhsa_exception_fp_ieee_div_zero 0
		.amdhsa_exception_fp_ieee_overflow 0
		.amdhsa_exception_fp_ieee_underflow 0
		.amdhsa_exception_fp_ieee_inexact 0
		.amdhsa_exception_int_div_zero 0
	.end_amdhsa_kernel
	.section	.text._ZL20rocblas_trmvt_kernelILi512ELb1ELb1ELb1EPKPKfPKPfS4_EviT3_lllT4_lllT5_li,"axG",@progbits,_ZL20rocblas_trmvt_kernelILi512ELb1ELb1ELb1EPKPKfPKPfS4_EviT3_lllT4_lllT5_li,comdat
.Lfunc_end56:
	.size	_ZL20rocblas_trmvt_kernelILi512ELb1ELb1ELb1EPKPKfPKPfS4_EviT3_lllT4_lllT5_li, .Lfunc_end56-_ZL20rocblas_trmvt_kernelILi512ELb1ELb1ELb1EPKPKfPKPfS4_EviT3_lllT4_lllT5_li
                                        ; -- End function
	.set _ZL20rocblas_trmvt_kernelILi512ELb1ELb1ELb1EPKPKfPKPfS4_EviT3_lllT4_lllT5_li.num_vgpr, 10
	.set _ZL20rocblas_trmvt_kernelILi512ELb1ELb1ELb1EPKPKfPKPfS4_EviT3_lllT4_lllT5_li.num_agpr, 0
	.set _ZL20rocblas_trmvt_kernelILi512ELb1ELb1ELb1EPKPKfPKPfS4_EviT3_lllT4_lllT5_li.numbered_sgpr, 22
	.set _ZL20rocblas_trmvt_kernelILi512ELb1ELb1ELb1EPKPKfPKPfS4_EviT3_lllT4_lllT5_li.num_named_barrier, 0
	.set _ZL20rocblas_trmvt_kernelILi512ELb1ELb1ELb1EPKPKfPKPfS4_EviT3_lllT4_lllT5_li.private_seg_size, 0
	.set _ZL20rocblas_trmvt_kernelILi512ELb1ELb1ELb1EPKPKfPKPfS4_EviT3_lllT4_lllT5_li.uses_vcc, 1
	.set _ZL20rocblas_trmvt_kernelILi512ELb1ELb1ELb1EPKPKfPKPfS4_EviT3_lllT4_lllT5_li.uses_flat_scratch, 0
	.set _ZL20rocblas_trmvt_kernelILi512ELb1ELb1ELb1EPKPKfPKPfS4_EviT3_lllT4_lllT5_li.has_dyn_sized_stack, 0
	.set _ZL20rocblas_trmvt_kernelILi512ELb1ELb1ELb1EPKPKfPKPfS4_EviT3_lllT4_lllT5_li.has_recursion, 0
	.set _ZL20rocblas_trmvt_kernelILi512ELb1ELb1ELb1EPKPKfPKPfS4_EviT3_lllT4_lllT5_li.has_indirect_call, 0
	.section	.AMDGPU.csdata,"",@progbits
; Kernel info:
; codeLenInByte = 1012
; TotalNumSgprs: 24
; NumVgprs: 10
; ScratchSize: 0
; MemoryBound: 0
; FloatMode: 240
; IeeeMode: 1
; LDSByteSize: 128 bytes/workgroup (compile time only)
; SGPRBlocks: 0
; VGPRBlocks: 1
; NumSGPRsForWavesPerEU: 24
; NumVGPRsForWavesPerEU: 10
; Occupancy: 16
; WaveLimiterHint : 1
; COMPUTE_PGM_RSRC2:SCRATCH_EN: 0
; COMPUTE_PGM_RSRC2:USER_SGPR: 6
; COMPUTE_PGM_RSRC2:TRAP_HANDLER: 0
; COMPUTE_PGM_RSRC2:TGID_X_EN: 1
; COMPUTE_PGM_RSRC2:TGID_Y_EN: 0
; COMPUTE_PGM_RSRC2:TGID_Z_EN: 1
; COMPUTE_PGM_RSRC2:TIDIG_COMP_CNT: 0
	.section	.text._ZL20rocblas_trmvn_kernelILi64ELi16ELb1ELb0EPKPKfPKPfS4_EviT3_lllT4_lllT5_li,"axG",@progbits,_ZL20rocblas_trmvn_kernelILi64ELi16ELb1ELb0EPKPKfPKPfS4_EviT3_lllT4_lllT5_li,comdat
	.globl	_ZL20rocblas_trmvn_kernelILi64ELi16ELb1ELb0EPKPKfPKPfS4_EviT3_lllT4_lllT5_li ; -- Begin function _ZL20rocblas_trmvn_kernelILi64ELi16ELb1ELb0EPKPKfPKPfS4_EviT3_lllT4_lllT5_li
	.p2align	8
	.type	_ZL20rocblas_trmvn_kernelILi64ELi16ELb1ELb0EPKPKfPKPfS4_EviT3_lllT4_lllT5_li,@function
_ZL20rocblas_trmvn_kernelILi64ELi16ELb1ELb0EPKPKfPKPfS4_EviT3_lllT4_lllT5_li: ; @_ZL20rocblas_trmvn_kernelILi64ELi16ELb1ELb0EPKPKfPKPfS4_EviT3_lllT4_lllT5_li
; %bb.0:
	s_clause 0x2
	s_load_dwordx4 s[0:3], s[4:5], 0x8
	s_load_dwordx4 s[8:11], s[4:5], 0x28
	s_load_dword s20, s[4:5], 0x0
	s_mov_b32 s12, s7
	s_mov_b32 s13, 0
	s_clause 0x1
	s_load_dwordx2 s[14:15], s[4:5], 0x18
	s_load_dwordx2 s[16:17], s[4:5], 0x38
	s_lshl_b64 s[18:19], s[12:13], 3
	v_lshl_add_u32 v2, s6, 6, v0
	v_mov_b32_e32 v7, 0
	s_waitcnt lgkmcnt(0)
	s_add_u32 s0, s0, s18
	s_addc_u32 s1, s1, s19
	s_add_u32 s18, s8, s18
	s_addc_u32 s19, s9, s19
	s_load_dwordx2 s[8:9], s[0:1], 0x0
	s_load_dwordx2 s[18:19], s[18:19], 0x0
	v_cmp_eq_u32_e64 s0, 0, v1
	v_cmp_gt_i32_e32 vcc_lo, s20, v2
	s_and_b32 s0, s0, vcc_lo
	s_and_saveexec_b32 s1, s0
	s_cbranch_execz .LBB57_2
; %bb.1:
	v_ashrrev_i32_e32 v3, 31, v2
	v_mul_lo_u32 v8, v2, s15
	v_mul_lo_u32 v10, s17, v2
	v_mad_u64_u32 v[6:7], null, s16, v2, 0
	v_mul_lo_u32 v9, v3, s14
	v_mad_u64_u32 v[4:5], null, v2, s14, v[2:3]
	v_mul_lo_u32 v3, s16, v3
	s_lshl_b64 s[6:7], s[2:3], 2
	s_waitcnt lgkmcnt(0)
	s_add_u32 s0, s8, s6
	s_addc_u32 s13, s9, s7
	s_lshl_b64 s[6:7], s[10:11], 2
	v_add3_u32 v5, v9, v5, v8
	s_add_u32 s6, s18, s6
	v_add3_u32 v7, v7, v3, v10
	s_addc_u32 s7, s19, s7
	v_lshlrev_b64 v[3:4], 2, v[4:5]
	v_lshlrev_b64 v[5:6], 2, v[6:7]
	v_add_co_u32 v3, s0, s0, v3
	v_add_co_ci_u32_e64 v4, null, s13, v4, s0
	v_add_co_u32 v5, s0, s6, v5
	v_add_co_ci_u32_e64 v6, null, s7, v6, s0
	flat_load_dword v3, v[3:4]
	flat_load_dword v4, v[5:6]
	s_waitcnt vmcnt(0) lgkmcnt(0)
	v_mul_f32_e32 v7, v3, v4
.LBB57_2:
	s_or_b32 exec_lo, exec_lo, s1
	s_load_dword s13, s[4:5], 0x6c
	s_mov_b32 s21, exec_lo
	v_cmpx_gt_i32_e64 s20, v1
	s_cbranch_execz .LBB57_8
; %bb.3:
	v_mad_u64_u32 v[4:5], null, s14, v1, 0
	v_mad_u64_u32 v[8:9], null, s16, v1, 0
	s_lshl_b64 s[0:1], s[10:11], 2
	s_waitcnt lgkmcnt(0)
	s_add_u32 s6, s18, s0
	s_addc_u32 s7, s19, s1
	v_mov_b32_e32 v3, v5
	s_lshl_b64 s[0:1], s[2:3], 2
	s_lshl_b64 s[2:3], s[16:17], 6
	v_mad_u64_u32 v[5:6], null, s15, v1, v[3:4]
	v_mov_b32_e32 v3, v9
	v_mad_u64_u32 v[9:10], null, s17, v1, v[3:4]
	v_ashrrev_i32_e32 v3, 31, v2
	v_lshlrev_b64 v[4:5], 2, v[4:5]
	v_lshlrev_b64 v[10:11], 2, v[2:3]
	v_add_co_u32 v6, s0, v4, s0
	v_add_co_ci_u32_e64 v5, null, s1, v5, s0
	v_lshlrev_b64 v[3:4], 2, v[8:9]
	v_add_co_u32 v6, s0, v6, v10
	v_add_co_ci_u32_e64 v8, null, v5, v11, s0
	v_add_co_u32 v3, s0, s6, v3
	v_add_co_ci_u32_e64 v4, null, s7, v4, s0
	;; [unrolled: 2-line block ×3, first 2 shown]
	v_mov_b32_e32 v8, v1
	s_lshl_b64 s[6:7], s[14:15], 6
	s_mov_b32 s8, 0
	s_inst_prefetch 0x1
	s_branch .LBB57_5
	.p2align	6
.LBB57_4:                               ;   in Loop: Header=BB57_5 Depth=1
	s_or_b32 exec_lo, exec_lo, s0
	v_add_nc_u32_e32 v8, 16, v8
	v_add_co_u32 v3, s0, v3, s2
	v_add_co_ci_u32_e64 v4, null, s3, v4, s0
	v_cmp_le_i32_e64 s0, s20, v8
	v_add_co_u32 v5, s1, v5, s6
	v_add_co_ci_u32_e64 v6, null, s7, v6, s1
	s_or_b32 s8, s0, s8
	s_andn2_b32 exec_lo, exec_lo, s8
	s_cbranch_execz .LBB57_7
.LBB57_5:                               ; =>This Inner Loop Header: Depth=1
	v_cmp_lt_i32_e64 s0, v8, v2
	s_and_b32 s1, vcc_lo, s0
	s_and_saveexec_b32 s0, s1
	s_cbranch_execz .LBB57_4
; %bb.6:                                ;   in Loop: Header=BB57_5 Depth=1
	flat_load_dword v9, v[5:6]
	flat_load_dword v10, v[3:4]
	s_waitcnt vmcnt(0) lgkmcnt(0)
	v_fmac_f32_e32 v7, v9, v10
	s_branch .LBB57_4
.LBB57_7:
	s_inst_prefetch 0x2
	s_or_b32 exec_lo, exec_lo, s8
.LBB57_8:
	s_or_b32 exec_lo, exec_lo, s21
	v_lshlrev_b32_e32 v3, 2, v0
	s_waitcnt lgkmcnt(0)
	s_and_b32 s1, 0xffff, s13
	s_mov_b32 s2, exec_lo
	v_mad_u32_u24 v0, v1, s1, v0
	v_lshl_add_u32 v4, v1, 8, v3
	ds_write_b32 v4, v7
	s_waitcnt lgkmcnt(0)
	s_barrier
	buffer_gl0_inv
	v_cmpx_gt_u32_e32 64, v0
	s_cbranch_execz .LBB57_11
; %bb.9:
	v_mul_u32_u24_e32 v0, s1, v1
	v_lshl_add_u32 v9, v0, 2, v3
	ds_read2st64_b32 v[0:1], v9 offset1:1
	ds_read2st64_b32 v[3:4], v9 offset0:2 offset1:3
	ds_read2st64_b32 v[5:6], v9 offset0:4 offset1:5
	;; [unrolled: 1-line block ×3, first 2 shown]
	s_waitcnt lgkmcnt(3)
	v_add_f32_e32 v0, v0, v1
	s_waitcnt lgkmcnt(2)
	v_add_f32_e32 v0, v3, v0
	v_add_f32_e32 v0, v4, v0
	s_waitcnt lgkmcnt(1)
	v_add_f32_e32 v3, v5, v0
	ds_read2st64_b32 v[0:1], v9 offset0:8 offset1:9
	v_add_f32_e32 v3, v6, v3
	s_waitcnt lgkmcnt(1)
	v_add_f32_e32 v5, v7, v3
	ds_read2st64_b32 v[3:4], v9 offset0:10 offset1:11
	v_add_f32_e32 v10, v8, v5
	ds_read2st64_b32 v[5:6], v9 offset0:12 offset1:13
	ds_read2st64_b32 v[7:8], v9 offset0:14 offset1:15
	s_waitcnt lgkmcnt(3)
	v_add_f32_e32 v0, v0, v10
	v_add_f32_e32 v0, v1, v0
	s_waitcnt lgkmcnt(2)
	v_add_f32_e32 v0, v3, v0
	v_add_f32_e32 v0, v4, v0
	s_waitcnt lgkmcnt(1)
	v_add_f32_e32 v0, v5, v0
	v_add_f32_e32 v0, v6, v0
	s_waitcnt lgkmcnt(0)
	v_add_f32_e32 v0, v7, v0
	v_add_f32_e32 v0, v8, v0
	ds_write_b32 v9, v0
	s_and_b32 exec_lo, exec_lo, vcc_lo
	s_cbranch_execz .LBB57_11
; %bb.10:
	s_load_dwordx4 s[0:3], s[4:5], 0x48
	v_ashrrev_i32_e32 v3, 31, v2
	v_lshlrev_b64 v[1:2], 2, v[2:3]
	s_waitcnt lgkmcnt(0)
	s_mul_i32 s3, s3, s12
	s_mul_hi_u32 s4, s2, s12
	s_mul_i32 s2, s2, s12
	s_add_i32 s3, s4, s3
	s_lshl_b64 s[2:3], s[2:3], 2
	s_add_u32 s0, s0, s2
	s_addc_u32 s1, s1, s3
	v_add_co_u32 v1, vcc_lo, s0, v1
	v_add_co_ci_u32_e64 v2, null, s1, v2, vcc_lo
	global_store_dword v[1:2], v0, off
.LBB57_11:
	s_endpgm
	.section	.rodata,"a",@progbits
	.p2align	6, 0x0
	.amdhsa_kernel _ZL20rocblas_trmvn_kernelILi64ELi16ELb1ELb0EPKPKfPKPfS4_EviT3_lllT4_lllT5_li
		.amdhsa_group_segment_fixed_size 4096
		.amdhsa_private_segment_fixed_size 0
		.amdhsa_kernarg_size 352
		.amdhsa_user_sgpr_count 6
		.amdhsa_user_sgpr_private_segment_buffer 1
		.amdhsa_user_sgpr_dispatch_ptr 0
		.amdhsa_user_sgpr_queue_ptr 0
		.amdhsa_user_sgpr_kernarg_segment_ptr 1
		.amdhsa_user_sgpr_dispatch_id 0
		.amdhsa_user_sgpr_flat_scratch_init 0
		.amdhsa_user_sgpr_private_segment_size 0
		.amdhsa_wavefront_size32 1
		.amdhsa_uses_dynamic_stack 0
		.amdhsa_system_sgpr_private_segment_wavefront_offset 0
		.amdhsa_system_sgpr_workgroup_id_x 1
		.amdhsa_system_sgpr_workgroup_id_y 0
		.amdhsa_system_sgpr_workgroup_id_z 1
		.amdhsa_system_sgpr_workgroup_info 0
		.amdhsa_system_vgpr_workitem_id 1
		.amdhsa_next_free_vgpr 12
		.amdhsa_next_free_sgpr 22
		.amdhsa_reserve_vcc 1
		.amdhsa_reserve_flat_scratch 0
		.amdhsa_float_round_mode_32 0
		.amdhsa_float_round_mode_16_64 0
		.amdhsa_float_denorm_mode_32 3
		.amdhsa_float_denorm_mode_16_64 3
		.amdhsa_dx10_clamp 1
		.amdhsa_ieee_mode 1
		.amdhsa_fp16_overflow 0
		.amdhsa_workgroup_processor_mode 1
		.amdhsa_memory_ordered 1
		.amdhsa_forward_progress 1
		.amdhsa_shared_vgpr_count 0
		.amdhsa_exception_fp_ieee_invalid_op 0
		.amdhsa_exception_fp_denorm_src 0
		.amdhsa_exception_fp_ieee_div_zero 0
		.amdhsa_exception_fp_ieee_overflow 0
		.amdhsa_exception_fp_ieee_underflow 0
		.amdhsa_exception_fp_ieee_inexact 0
		.amdhsa_exception_int_div_zero 0
	.end_amdhsa_kernel
	.section	.text._ZL20rocblas_trmvn_kernelILi64ELi16ELb1ELb0EPKPKfPKPfS4_EviT3_lllT4_lllT5_li,"axG",@progbits,_ZL20rocblas_trmvn_kernelILi64ELi16ELb1ELb0EPKPKfPKPfS4_EviT3_lllT4_lllT5_li,comdat
.Lfunc_end57:
	.size	_ZL20rocblas_trmvn_kernelILi64ELi16ELb1ELb0EPKPKfPKPfS4_EviT3_lllT4_lllT5_li, .Lfunc_end57-_ZL20rocblas_trmvn_kernelILi64ELi16ELb1ELb0EPKPKfPKPfS4_EviT3_lllT4_lllT5_li
                                        ; -- End function
	.set _ZL20rocblas_trmvn_kernelILi64ELi16ELb1ELb0EPKPKfPKPfS4_EviT3_lllT4_lllT5_li.num_vgpr, 12
	.set _ZL20rocblas_trmvn_kernelILi64ELi16ELb1ELb0EPKPKfPKPfS4_EviT3_lllT4_lllT5_li.num_agpr, 0
	.set _ZL20rocblas_trmvn_kernelILi64ELi16ELb1ELb0EPKPKfPKPfS4_EviT3_lllT4_lllT5_li.numbered_sgpr, 22
	.set _ZL20rocblas_trmvn_kernelILi64ELi16ELb1ELb0EPKPKfPKPfS4_EviT3_lllT4_lllT5_li.num_named_barrier, 0
	.set _ZL20rocblas_trmvn_kernelILi64ELi16ELb1ELb0EPKPKfPKPfS4_EviT3_lllT4_lllT5_li.private_seg_size, 0
	.set _ZL20rocblas_trmvn_kernelILi64ELi16ELb1ELb0EPKPKfPKPfS4_EviT3_lllT4_lllT5_li.uses_vcc, 1
	.set _ZL20rocblas_trmvn_kernelILi64ELi16ELb1ELb0EPKPKfPKPfS4_EviT3_lllT4_lllT5_li.uses_flat_scratch, 0
	.set _ZL20rocblas_trmvn_kernelILi64ELi16ELb1ELb0EPKPKfPKPfS4_EviT3_lllT4_lllT5_li.has_dyn_sized_stack, 0
	.set _ZL20rocblas_trmvn_kernelILi64ELi16ELb1ELb0EPKPKfPKPfS4_EviT3_lllT4_lllT5_li.has_recursion, 0
	.set _ZL20rocblas_trmvn_kernelILi64ELi16ELb1ELb0EPKPKfPKPfS4_EviT3_lllT4_lllT5_li.has_indirect_call, 0
	.section	.AMDGPU.csdata,"",@progbits
; Kernel info:
; codeLenInByte = 964
; TotalNumSgprs: 24
; NumVgprs: 12
; ScratchSize: 0
; MemoryBound: 0
; FloatMode: 240
; IeeeMode: 1
; LDSByteSize: 4096 bytes/workgroup (compile time only)
; SGPRBlocks: 0
; VGPRBlocks: 1
; NumSGPRsForWavesPerEU: 24
; NumVGPRsForWavesPerEU: 12
; Occupancy: 16
; WaveLimiterHint : 1
; COMPUTE_PGM_RSRC2:SCRATCH_EN: 0
; COMPUTE_PGM_RSRC2:USER_SGPR: 6
; COMPUTE_PGM_RSRC2:TRAP_HANDLER: 0
; COMPUTE_PGM_RSRC2:TGID_X_EN: 1
; COMPUTE_PGM_RSRC2:TGID_Y_EN: 0
; COMPUTE_PGM_RSRC2:TGID_Z_EN: 1
; COMPUTE_PGM_RSRC2:TIDIG_COMP_CNT: 1
	.section	.text._ZL20rocblas_trmvt_kernelILi512ELb1ELb0ELb0EPKPKfPKPfS4_EviT3_lllT4_lllT5_li,"axG",@progbits,_ZL20rocblas_trmvt_kernelILi512ELb1ELb0ELb0EPKPKfPKPfS4_EviT3_lllT4_lllT5_li,comdat
	.globl	_ZL20rocblas_trmvt_kernelILi512ELb1ELb0ELb0EPKPKfPKPfS4_EviT3_lllT4_lllT5_li ; -- Begin function _ZL20rocblas_trmvt_kernelILi512ELb1ELb0ELb0EPKPKfPKPfS4_EviT3_lllT4_lllT5_li
	.p2align	8
	.type	_ZL20rocblas_trmvt_kernelILi512ELb1ELb0ELb0EPKPKfPKPfS4_EviT3_lllT4_lllT5_li,@function
_ZL20rocblas_trmvt_kernelILi512ELb1ELb0ELb0EPKPKfPKPfS4_EviT3_lllT4_lllT5_li: ; @_ZL20rocblas_trmvt_kernelILi512ELb1ELb0ELb0EPKPKfPKPfS4_EviT3_lllT4_lllT5_li
; %bb.0:
	s_load_dwordx4 s[12:15], s[4:5], 0x8
	s_mov_b32 s2, s7
	s_mov_b32 s3, 0
	v_mov_b32_e32 v5, 0
	s_lshl_b64 s[16:17], s[2:3], 3
	s_load_dword s3, s[4:5], 0x0
	s_waitcnt lgkmcnt(0)
	s_add_u32 s0, s12, s16
	s_addc_u32 s1, s13, s17
	s_load_dwordx2 s[18:19], s[4:5], 0x18
	s_load_dwordx2 s[20:21], s[0:1], 0x0
	s_clause 0x1
	s_load_dwordx4 s[8:11], s[4:5], 0x28
	s_load_dwordx2 s[12:13], s[4:5], 0x38
	s_lshl_b64 s[14:15], s[14:15], 2
	v_cmp_gt_i32_e64 s0, s3, v0
	v_cndmask_b32_e64 v1, 0, v0, s0
	v_lshlrev_b32_e32 v1, 2, v1
	s_waitcnt lgkmcnt(0)
	s_mul_hi_u32 s1, s18, s6
	s_add_u32 s20, s20, s14
	s_addc_u32 s21, s21, s15
	s_add_u32 s8, s8, s16
	s_addc_u32 s9, s9, s17
	s_ashr_i32 s7, s6, 31
	s_load_dwordx2 s[8:9], s[8:9], 0x0
	s_mul_i32 s14, s18, s7
	s_add_i32 s1, s1, s14
	s_mul_i32 s14, s19, s6
	s_add_i32 s15, s1, s14
	v_add_co_u32 v1, s1, s20, v1
	s_mul_i32 s14, s18, s6
	v_add_co_ci_u32_e64 v2, null, s21, 0, s1
	s_lshl_b64 s[14:15], s[14:15], 2
	v_add_co_u32 v1, vcc_lo, v1, s14
	v_add_co_ci_u32_e64 v2, null, s15, v2, vcc_lo
	v_cmp_eq_u32_e32 vcc_lo, 0, v0
	s_and_saveexec_b32 s14, vcc_lo
	s_cbranch_execz .LBB58_2
; %bb.1:
	s_lshl_b64 s[16:17], s[10:11], 2
	s_mul_i32 s1, s12, s7
	s_waitcnt lgkmcnt(0)
	s_add_u32 s15, s8, s16
	s_mul_hi_u32 s16, s12, s6
	s_addc_u32 s20, s9, s17
	s_add_i32 s1, s16, s1
	s_mul_i32 s16, s13, s6
	s_lshl_b64 s[18:19], s[6:7], 2
	s_add_i32 s17, s1, s16
	s_mul_i32 s16, s12, s6
	v_add_co_u32 v3, s1, v1, s18
	s_lshl_b64 s[16:17], s[16:17], 2
	v_add_co_ci_u32_e64 v4, null, s19, v2, s1
	s_add_u32 s16, s15, s16
	s_addc_u32 s17, s20, s17
	v_mov_b32_e32 v5, s16
	v_mov_b32_e32 v6, s17
	flat_load_dword v3, v[3:4]
	flat_load_dword v4, v[5:6]
	s_waitcnt vmcnt(0) lgkmcnt(0)
	v_fma_f32 v5, v3, v4, 0
.LBB58_2:
	s_or_b32 exec_lo, exec_lo, s14
	s_and_saveexec_b32 s14, s0
	s_cbranch_execz .LBB58_8
; %bb.3:
	v_mad_u64_u32 v[3:4], null, s12, v0, 0
	s_lshl_b64 s[0:1], s[10:11], 2
	s_mov_b32 s10, 0
	s_waitcnt lgkmcnt(0)
	s_add_u32 s0, s8, s0
	s_addc_u32 s1, s9, s1
	s_lshl_b64 s[8:9], s[12:13], 11
	v_mad_u64_u32 v[6:7], null, s13, v0, v[4:5]
	v_mov_b32_e32 v4, v6
	v_mov_b32_e32 v6, v0
	v_lshlrev_b64 v[3:4], 2, v[3:4]
	v_add_co_u32 v3, s0, s0, v3
	v_add_co_ci_u32_e64 v4, null, s1, v4, s0
	s_inst_prefetch 0x1
	s_branch .LBB58_5
	.p2align	6
.LBB58_4:                               ;   in Loop: Header=BB58_5 Depth=1
	s_or_b32 exec_lo, exec_lo, s1
	v_add_nc_u32_e32 v6, 0x200, v6
	v_add_co_u32 v1, s0, 0x800, v1
	v_add_co_ci_u32_e64 v2, null, 0, v2, s0
	v_cmp_le_i32_e64 s0, s3, v6
	v_add_co_u32 v3, s1, v3, s8
	v_add_co_ci_u32_e64 v4, null, s9, v4, s1
	s_or_b32 s10, s0, s10
	s_andn2_b32 exec_lo, exec_lo, s10
	s_cbranch_execz .LBB58_7
.LBB58_5:                               ; =>This Inner Loop Header: Depth=1
	s_mov_b32 s1, exec_lo
	v_cmpx_lt_i32_e64 s6, v6
	s_cbranch_execz .LBB58_4
; %bb.6:                                ;   in Loop: Header=BB58_5 Depth=1
	flat_load_dword v7, v[1:2]
	flat_load_dword v8, v[3:4]
	s_waitcnt vmcnt(0) lgkmcnt(0)
	v_fmac_f32_e32 v5, v7, v8
	s_branch .LBB58_4
.LBB58_7:
	s_inst_prefetch 0x2
	s_or_b32 exec_lo, exec_lo, s10
.LBB58_8:
	s_or_b32 exec_lo, exec_lo, s14
	v_and_b32_e32 v6, 31, v0
	v_cmp_gt_u32_e64 s0, 32, v0
	v_lshlrev_b32_e32 v1, 2, v6
	s_and_saveexec_b32 s1, s0
; %bb.9:
	v_mov_b32_e32 v2, 0
	ds_write_b32 v1, v2
; %bb.10:
	s_or_b32 exec_lo, exec_lo, s1
	v_mbcnt_lo_u32_b32 v7, -1, 0
	s_mov_b32 s3, exec_lo
	s_waitcnt lgkmcnt(0)
	s_barrier
	buffer_gl0_inv
	v_lshl_or_b32 v2, v7, 2, 64
	v_cmp_gt_u32_e64 s1, 24, v7
	ds_bpermute_b32 v3, v2, v5
	v_cndmask_b32_e64 v2, 0, 8, s1
	v_cmp_gt_u32_e64 s1, 28, v7
	v_add_lshl_u32 v2, v2, v7, 2
	s_waitcnt lgkmcnt(0)
	v_add_f32_e32 v4, v5, v3
	v_cndmask_b32_e64 v3, 0, 4, s1
	v_cmp_gt_u32_e64 s1, 30, v7
	ds_bpermute_b32 v5, v2, v4
	v_add_lshl_u32 v3, v3, v7, 2
	s_waitcnt lgkmcnt(0)
	v_add_f32_e32 v5, v4, v5
	v_cndmask_b32_e64 v4, 0, 2, s1
	v_cmp_ne_u32_e64 s1, 31, v7
	ds_bpermute_b32 v8, v3, v5
	v_add_lshl_u32 v4, v4, v7, 2
	v_add_co_ci_u32_e64 v9, null, 0, v7, s1
	s_waitcnt lgkmcnt(0)
	v_add_f32_e32 v5, v5, v8
	ds_bpermute_b32 v8, v4, v5
	s_waitcnt lgkmcnt(0)
	v_add_f32_e32 v7, v5, v8
	v_lshlrev_b32_e32 v5, 2, v9
	ds_bpermute_b32 v8, v5, v7
	v_cmpx_eq_u32_e32 0, v6
	s_cbranch_execz .LBB58_12
; %bb.11:
	v_lshrrev_b32_e32 v6, 3, v0
	s_waitcnt lgkmcnt(0)
	v_add_f32_e32 v7, v7, v8
	v_and_b32_e32 v6, 60, v6
	ds_write_b32 v6, v7
.LBB58_12:
	s_or_b32 exec_lo, exec_lo, s3
	v_cmp_gt_u32_e64 s1, 16, v0
	v_mov_b32_e32 v0, 0
	s_waitcnt lgkmcnt(0)
	s_barrier
	buffer_gl0_inv
	s_and_saveexec_b32 s3, s1
	s_cbranch_execnz .LBB58_16
; %bb.13:
	s_or_b32 exec_lo, exec_lo, s3
	s_and_saveexec_b32 s1, s0
	s_cbranch_execnz .LBB58_17
.LBB58_14:
	s_or_b32 exec_lo, exec_lo, s1
	s_and_saveexec_b32 s0, vcc_lo
	s_cbranch_execnz .LBB58_18
.LBB58_15:
	s_endpgm
.LBB58_16:
	ds_read_b32 v0, v1
	s_or_b32 exec_lo, exec_lo, s3
	s_and_saveexec_b32 s1, s0
	s_cbranch_execz .LBB58_14
.LBB58_17:
	s_waitcnt lgkmcnt(0)
	ds_bpermute_b32 v1, v2, v0
	s_waitcnt lgkmcnt(0)
	v_add_f32_e32 v0, v0, v1
	ds_bpermute_b32 v1, v3, v0
	s_waitcnt lgkmcnt(0)
	v_add_f32_e32 v0, v0, v1
	;; [unrolled: 3-line block ×4, first 2 shown]
	s_or_b32 exec_lo, exec_lo, s1
	s_and_saveexec_b32 s0, vcc_lo
	s_cbranch_execz .LBB58_15
.LBB58_18:
	s_load_dwordx4 s[8:11], s[4:5], 0x48
	v_mov_b32_e32 v1, 0
	s_waitcnt lgkmcnt(0)
	s_mul_i32 s1, s11, s2
	s_mul_hi_u32 s3, s10, s2
	s_mul_i32 s0, s10, s2
	s_add_i32 s1, s3, s1
	s_lshl_b64 s[0:1], s[0:1], 2
	s_add_u32 s2, s8, s0
	s_addc_u32 s3, s9, s1
	s_lshl_b64 s[0:1], s[6:7], 2
	s_add_u32 s0, s2, s0
	s_addc_u32 s1, s3, s1
	global_store_dword v1, v0, s[0:1]
	s_endpgm
	.section	.rodata,"a",@progbits
	.p2align	6, 0x0
	.amdhsa_kernel _ZL20rocblas_trmvt_kernelILi512ELb1ELb0ELb0EPKPKfPKPfS4_EviT3_lllT4_lllT5_li
		.amdhsa_group_segment_fixed_size 128
		.amdhsa_private_segment_fixed_size 0
		.amdhsa_kernarg_size 92
		.amdhsa_user_sgpr_count 6
		.amdhsa_user_sgpr_private_segment_buffer 1
		.amdhsa_user_sgpr_dispatch_ptr 0
		.amdhsa_user_sgpr_queue_ptr 0
		.amdhsa_user_sgpr_kernarg_segment_ptr 1
		.amdhsa_user_sgpr_dispatch_id 0
		.amdhsa_user_sgpr_flat_scratch_init 0
		.amdhsa_user_sgpr_private_segment_size 0
		.amdhsa_wavefront_size32 1
		.amdhsa_uses_dynamic_stack 0
		.amdhsa_system_sgpr_private_segment_wavefront_offset 0
		.amdhsa_system_sgpr_workgroup_id_x 1
		.amdhsa_system_sgpr_workgroup_id_y 0
		.amdhsa_system_sgpr_workgroup_id_z 1
		.amdhsa_system_sgpr_workgroup_info 0
		.amdhsa_system_vgpr_workitem_id 0
		.amdhsa_next_free_vgpr 10
		.amdhsa_next_free_sgpr 22
		.amdhsa_reserve_vcc 1
		.amdhsa_reserve_flat_scratch 0
		.amdhsa_float_round_mode_32 0
		.amdhsa_float_round_mode_16_64 0
		.amdhsa_float_denorm_mode_32 3
		.amdhsa_float_denorm_mode_16_64 3
		.amdhsa_dx10_clamp 1
		.amdhsa_ieee_mode 1
		.amdhsa_fp16_overflow 0
		.amdhsa_workgroup_processor_mode 1
		.amdhsa_memory_ordered 1
		.amdhsa_forward_progress 1
		.amdhsa_shared_vgpr_count 0
		.amdhsa_exception_fp_ieee_invalid_op 0
		.amdhsa_exception_fp_denorm_src 0
		.amdhsa_exception_fp_ieee_div_zero 0
		.amdhsa_exception_fp_ieee_overflow 0
		.amdhsa_exception_fp_ieee_underflow 0
		.amdhsa_exception_fp_ieee_inexact 0
		.amdhsa_exception_int_div_zero 0
	.end_amdhsa_kernel
	.section	.text._ZL20rocblas_trmvt_kernelILi512ELb1ELb0ELb0EPKPKfPKPfS4_EviT3_lllT4_lllT5_li,"axG",@progbits,_ZL20rocblas_trmvt_kernelILi512ELb1ELb0ELb0EPKPKfPKPfS4_EviT3_lllT4_lllT5_li,comdat
.Lfunc_end58:
	.size	_ZL20rocblas_trmvt_kernelILi512ELb1ELb0ELb0EPKPKfPKPfS4_EviT3_lllT4_lllT5_li, .Lfunc_end58-_ZL20rocblas_trmvt_kernelILi512ELb1ELb0ELb0EPKPKfPKPfS4_EviT3_lllT4_lllT5_li
                                        ; -- End function
	.set _ZL20rocblas_trmvt_kernelILi512ELb1ELb0ELb0EPKPKfPKPfS4_EviT3_lllT4_lllT5_li.num_vgpr, 10
	.set _ZL20rocblas_trmvt_kernelILi512ELb1ELb0ELb0EPKPKfPKPfS4_EviT3_lllT4_lllT5_li.num_agpr, 0
	.set _ZL20rocblas_trmvt_kernelILi512ELb1ELb0ELb0EPKPKfPKPfS4_EviT3_lllT4_lllT5_li.numbered_sgpr, 22
	.set _ZL20rocblas_trmvt_kernelILi512ELb1ELb0ELb0EPKPKfPKPfS4_EviT3_lllT4_lllT5_li.num_named_barrier, 0
	.set _ZL20rocblas_trmvt_kernelILi512ELb1ELb0ELb0EPKPKfPKPfS4_EviT3_lllT4_lllT5_li.private_seg_size, 0
	.set _ZL20rocblas_trmvt_kernelILi512ELb1ELb0ELb0EPKPKfPKPfS4_EviT3_lllT4_lllT5_li.uses_vcc, 1
	.set _ZL20rocblas_trmvt_kernelILi512ELb1ELb0ELb0EPKPKfPKPfS4_EviT3_lllT4_lllT5_li.uses_flat_scratch, 0
	.set _ZL20rocblas_trmvt_kernelILi512ELb1ELb0ELb0EPKPKfPKPfS4_EviT3_lllT4_lllT5_li.has_dyn_sized_stack, 0
	.set _ZL20rocblas_trmvt_kernelILi512ELb1ELb0ELb0EPKPKfPKPfS4_EviT3_lllT4_lllT5_li.has_recursion, 0
	.set _ZL20rocblas_trmvt_kernelILi512ELb1ELb0ELb0EPKPKfPKPfS4_EviT3_lllT4_lllT5_li.has_indirect_call, 0
	.section	.AMDGPU.csdata,"",@progbits
; Kernel info:
; codeLenInByte = 1076
; TotalNumSgprs: 24
; NumVgprs: 10
; ScratchSize: 0
; MemoryBound: 0
; FloatMode: 240
; IeeeMode: 1
; LDSByteSize: 128 bytes/workgroup (compile time only)
; SGPRBlocks: 0
; VGPRBlocks: 1
; NumSGPRsForWavesPerEU: 24
; NumVGPRsForWavesPerEU: 10
; Occupancy: 16
; WaveLimiterHint : 1
; COMPUTE_PGM_RSRC2:SCRATCH_EN: 0
; COMPUTE_PGM_RSRC2:USER_SGPR: 6
; COMPUTE_PGM_RSRC2:TRAP_HANDLER: 0
; COMPUTE_PGM_RSRC2:TGID_X_EN: 1
; COMPUTE_PGM_RSRC2:TGID_Y_EN: 0
; COMPUTE_PGM_RSRC2:TGID_Z_EN: 1
; COMPUTE_PGM_RSRC2:TIDIG_COMP_CNT: 0
	.section	.text._ZL20rocblas_trmvt_kernelILi512ELb1ELb1ELb0EPKPKfPKPfS4_EviT3_lllT4_lllT5_li,"axG",@progbits,_ZL20rocblas_trmvt_kernelILi512ELb1ELb1ELb0EPKPKfPKPfS4_EviT3_lllT4_lllT5_li,comdat
	.globl	_ZL20rocblas_trmvt_kernelILi512ELb1ELb1ELb0EPKPKfPKPfS4_EviT3_lllT4_lllT5_li ; -- Begin function _ZL20rocblas_trmvt_kernelILi512ELb1ELb1ELb0EPKPKfPKPfS4_EviT3_lllT4_lllT5_li
	.p2align	8
	.type	_ZL20rocblas_trmvt_kernelILi512ELb1ELb1ELb0EPKPKfPKPfS4_EviT3_lllT4_lllT5_li,@function
_ZL20rocblas_trmvt_kernelILi512ELb1ELb1ELb0EPKPKfPKPfS4_EviT3_lllT4_lllT5_li: ; @_ZL20rocblas_trmvt_kernelILi512ELb1ELb1ELb0EPKPKfPKPfS4_EviT3_lllT4_lllT5_li
; %bb.0:
	s_load_dwordx4 s[12:15], s[4:5], 0x8
	s_mov_b32 s2, s7
	s_mov_b32 s3, 0
	v_mov_b32_e32 v5, 0
	s_lshl_b64 s[16:17], s[2:3], 3
	s_load_dword s3, s[4:5], 0x0
	s_waitcnt lgkmcnt(0)
	s_add_u32 s0, s12, s16
	s_addc_u32 s1, s13, s17
	s_load_dwordx2 s[18:19], s[4:5], 0x18
	s_load_dwordx2 s[20:21], s[0:1], 0x0
	s_clause 0x1
	s_load_dwordx4 s[8:11], s[4:5], 0x28
	s_load_dwordx2 s[12:13], s[4:5], 0x38
	s_lshl_b64 s[14:15], s[14:15], 2
	v_cmp_gt_i32_e64 s0, s3, v0
	v_cndmask_b32_e64 v1, 0, v0, s0
	v_lshlrev_b32_e32 v1, 2, v1
	s_waitcnt lgkmcnt(0)
	s_mul_hi_u32 s1, s18, s6
	s_add_u32 s20, s20, s14
	s_addc_u32 s21, s21, s15
	s_add_u32 s8, s8, s16
	s_addc_u32 s9, s9, s17
	s_ashr_i32 s7, s6, 31
	s_load_dwordx2 s[8:9], s[8:9], 0x0
	s_mul_i32 s14, s18, s7
	s_add_i32 s1, s1, s14
	s_mul_i32 s14, s19, s6
	s_add_i32 s15, s1, s14
	v_add_co_u32 v1, s1, s20, v1
	s_mul_i32 s14, s18, s6
	v_add_co_ci_u32_e64 v2, null, s21, 0, s1
	s_lshl_b64 s[14:15], s[14:15], 2
	v_add_co_u32 v1, vcc_lo, v1, s14
	v_add_co_ci_u32_e64 v2, null, s15, v2, vcc_lo
	v_cmp_eq_u32_e32 vcc_lo, 0, v0
	s_and_saveexec_b32 s14, vcc_lo
	s_cbranch_execz .LBB59_2
; %bb.1:
	s_lshl_b64 s[16:17], s[10:11], 2
	s_mul_i32 s1, s12, s7
	s_waitcnt lgkmcnt(0)
	s_add_u32 s15, s8, s16
	s_mul_hi_u32 s16, s12, s6
	s_addc_u32 s20, s9, s17
	s_add_i32 s1, s16, s1
	s_mul_i32 s16, s13, s6
	s_lshl_b64 s[18:19], s[6:7], 2
	s_add_i32 s17, s1, s16
	s_mul_i32 s16, s12, s6
	v_add_co_u32 v3, s1, v1, s18
	s_lshl_b64 s[16:17], s[16:17], 2
	v_add_co_ci_u32_e64 v4, null, s19, v2, s1
	s_add_u32 s16, s15, s16
	s_addc_u32 s17, s20, s17
	v_mov_b32_e32 v5, s16
	v_mov_b32_e32 v6, s17
	flat_load_dword v3, v[3:4]
	flat_load_dword v4, v[5:6]
	s_waitcnt vmcnt(0) lgkmcnt(0)
	v_fma_f32 v5, v3, v4, 0
.LBB59_2:
	s_or_b32 exec_lo, exec_lo, s14
	s_and_saveexec_b32 s14, s0
	s_cbranch_execz .LBB59_8
; %bb.3:
	v_mad_u64_u32 v[3:4], null, s12, v0, 0
	s_lshl_b64 s[0:1], s[10:11], 2
	s_mov_b32 s10, 0
	s_waitcnt lgkmcnt(0)
	s_add_u32 s0, s8, s0
	s_addc_u32 s1, s9, s1
	s_lshl_b64 s[8:9], s[12:13], 11
	v_mad_u64_u32 v[6:7], null, s13, v0, v[4:5]
	v_mov_b32_e32 v4, v6
	v_mov_b32_e32 v6, v0
	v_lshlrev_b64 v[3:4], 2, v[3:4]
	v_add_co_u32 v3, s0, s0, v3
	v_add_co_ci_u32_e64 v4, null, s1, v4, s0
	s_inst_prefetch 0x1
	s_branch .LBB59_5
	.p2align	6
.LBB59_4:                               ;   in Loop: Header=BB59_5 Depth=1
	s_or_b32 exec_lo, exec_lo, s1
	v_add_nc_u32_e32 v6, 0x200, v6
	v_add_co_u32 v1, s0, 0x800, v1
	v_add_co_ci_u32_e64 v2, null, 0, v2, s0
	v_cmp_le_i32_e64 s0, s3, v6
	v_add_co_u32 v3, s1, v3, s8
	v_add_co_ci_u32_e64 v4, null, s9, v4, s1
	s_or_b32 s10, s0, s10
	s_andn2_b32 exec_lo, exec_lo, s10
	s_cbranch_execz .LBB59_7
.LBB59_5:                               ; =>This Inner Loop Header: Depth=1
	s_mov_b32 s1, exec_lo
	v_cmpx_lt_i32_e64 s6, v6
	s_cbranch_execz .LBB59_4
; %bb.6:                                ;   in Loop: Header=BB59_5 Depth=1
	flat_load_dword v7, v[1:2]
	flat_load_dword v8, v[3:4]
	s_waitcnt vmcnt(0) lgkmcnt(0)
	v_fmac_f32_e32 v5, v7, v8
	s_branch .LBB59_4
.LBB59_7:
	s_inst_prefetch 0x2
	s_or_b32 exec_lo, exec_lo, s10
.LBB59_8:
	s_or_b32 exec_lo, exec_lo, s14
	v_and_b32_e32 v6, 31, v0
	v_cmp_gt_u32_e64 s0, 32, v0
	v_lshlrev_b32_e32 v1, 2, v6
	s_and_saveexec_b32 s1, s0
; %bb.9:
	v_mov_b32_e32 v2, 0
	ds_write_b32 v1, v2
; %bb.10:
	s_or_b32 exec_lo, exec_lo, s1
	v_mbcnt_lo_u32_b32 v7, -1, 0
	s_mov_b32 s3, exec_lo
	s_waitcnt lgkmcnt(0)
	s_barrier
	buffer_gl0_inv
	v_lshl_or_b32 v2, v7, 2, 64
	v_cmp_gt_u32_e64 s1, 24, v7
	ds_bpermute_b32 v3, v2, v5
	v_cndmask_b32_e64 v2, 0, 8, s1
	v_cmp_gt_u32_e64 s1, 28, v7
	v_add_lshl_u32 v2, v2, v7, 2
	s_waitcnt lgkmcnt(0)
	v_add_f32_e32 v4, v5, v3
	v_cndmask_b32_e64 v3, 0, 4, s1
	v_cmp_gt_u32_e64 s1, 30, v7
	ds_bpermute_b32 v5, v2, v4
	v_add_lshl_u32 v3, v3, v7, 2
	s_waitcnt lgkmcnt(0)
	v_add_f32_e32 v5, v4, v5
	v_cndmask_b32_e64 v4, 0, 2, s1
	v_cmp_ne_u32_e64 s1, 31, v7
	ds_bpermute_b32 v8, v3, v5
	v_add_lshl_u32 v4, v4, v7, 2
	v_add_co_ci_u32_e64 v9, null, 0, v7, s1
	s_waitcnt lgkmcnt(0)
	v_add_f32_e32 v5, v5, v8
	ds_bpermute_b32 v8, v4, v5
	s_waitcnt lgkmcnt(0)
	v_add_f32_e32 v7, v5, v8
	v_lshlrev_b32_e32 v5, 2, v9
	ds_bpermute_b32 v8, v5, v7
	v_cmpx_eq_u32_e32 0, v6
	s_cbranch_execz .LBB59_12
; %bb.11:
	v_lshrrev_b32_e32 v6, 3, v0
	s_waitcnt lgkmcnt(0)
	v_add_f32_e32 v7, v7, v8
	v_and_b32_e32 v6, 60, v6
	ds_write_b32 v6, v7
.LBB59_12:
	s_or_b32 exec_lo, exec_lo, s3
	v_cmp_gt_u32_e64 s1, 16, v0
	v_mov_b32_e32 v0, 0
	s_waitcnt lgkmcnt(0)
	s_barrier
	buffer_gl0_inv
	s_and_saveexec_b32 s3, s1
	s_cbranch_execnz .LBB59_16
; %bb.13:
	s_or_b32 exec_lo, exec_lo, s3
	s_and_saveexec_b32 s1, s0
	s_cbranch_execnz .LBB59_17
.LBB59_14:
	s_or_b32 exec_lo, exec_lo, s1
	s_and_saveexec_b32 s0, vcc_lo
	s_cbranch_execnz .LBB59_18
.LBB59_15:
	s_endpgm
.LBB59_16:
	ds_read_b32 v0, v1
	s_or_b32 exec_lo, exec_lo, s3
	s_and_saveexec_b32 s1, s0
	s_cbranch_execz .LBB59_14
.LBB59_17:
	s_waitcnt lgkmcnt(0)
	ds_bpermute_b32 v1, v2, v0
	s_waitcnt lgkmcnt(0)
	v_add_f32_e32 v0, v0, v1
	ds_bpermute_b32 v1, v3, v0
	s_waitcnt lgkmcnt(0)
	v_add_f32_e32 v0, v0, v1
	;; [unrolled: 3-line block ×4, first 2 shown]
	s_or_b32 exec_lo, exec_lo, s1
	s_and_saveexec_b32 s0, vcc_lo
	s_cbranch_execz .LBB59_15
.LBB59_18:
	s_load_dwordx4 s[8:11], s[4:5], 0x48
	v_mov_b32_e32 v1, 0
	s_waitcnt lgkmcnt(0)
	s_mul_i32 s1, s11, s2
	s_mul_hi_u32 s3, s10, s2
	s_mul_i32 s0, s10, s2
	s_add_i32 s1, s3, s1
	s_lshl_b64 s[0:1], s[0:1], 2
	s_add_u32 s2, s8, s0
	s_addc_u32 s3, s9, s1
	s_lshl_b64 s[0:1], s[6:7], 2
	s_add_u32 s0, s2, s0
	s_addc_u32 s1, s3, s1
	global_store_dword v1, v0, s[0:1]
	s_endpgm
	.section	.rodata,"a",@progbits
	.p2align	6, 0x0
	.amdhsa_kernel _ZL20rocblas_trmvt_kernelILi512ELb1ELb1ELb0EPKPKfPKPfS4_EviT3_lllT4_lllT5_li
		.amdhsa_group_segment_fixed_size 128
		.amdhsa_private_segment_fixed_size 0
		.amdhsa_kernarg_size 92
		.amdhsa_user_sgpr_count 6
		.amdhsa_user_sgpr_private_segment_buffer 1
		.amdhsa_user_sgpr_dispatch_ptr 0
		.amdhsa_user_sgpr_queue_ptr 0
		.amdhsa_user_sgpr_kernarg_segment_ptr 1
		.amdhsa_user_sgpr_dispatch_id 0
		.amdhsa_user_sgpr_flat_scratch_init 0
		.amdhsa_user_sgpr_private_segment_size 0
		.amdhsa_wavefront_size32 1
		.amdhsa_uses_dynamic_stack 0
		.amdhsa_system_sgpr_private_segment_wavefront_offset 0
		.amdhsa_system_sgpr_workgroup_id_x 1
		.amdhsa_system_sgpr_workgroup_id_y 0
		.amdhsa_system_sgpr_workgroup_id_z 1
		.amdhsa_system_sgpr_workgroup_info 0
		.amdhsa_system_vgpr_workitem_id 0
		.amdhsa_next_free_vgpr 10
		.amdhsa_next_free_sgpr 22
		.amdhsa_reserve_vcc 1
		.amdhsa_reserve_flat_scratch 0
		.amdhsa_float_round_mode_32 0
		.amdhsa_float_round_mode_16_64 0
		.amdhsa_float_denorm_mode_32 3
		.amdhsa_float_denorm_mode_16_64 3
		.amdhsa_dx10_clamp 1
		.amdhsa_ieee_mode 1
		.amdhsa_fp16_overflow 0
		.amdhsa_workgroup_processor_mode 1
		.amdhsa_memory_ordered 1
		.amdhsa_forward_progress 1
		.amdhsa_shared_vgpr_count 0
		.amdhsa_exception_fp_ieee_invalid_op 0
		.amdhsa_exception_fp_denorm_src 0
		.amdhsa_exception_fp_ieee_div_zero 0
		.amdhsa_exception_fp_ieee_overflow 0
		.amdhsa_exception_fp_ieee_underflow 0
		.amdhsa_exception_fp_ieee_inexact 0
		.amdhsa_exception_int_div_zero 0
	.end_amdhsa_kernel
	.section	.text._ZL20rocblas_trmvt_kernelILi512ELb1ELb1ELb0EPKPKfPKPfS4_EviT3_lllT4_lllT5_li,"axG",@progbits,_ZL20rocblas_trmvt_kernelILi512ELb1ELb1ELb0EPKPKfPKPfS4_EviT3_lllT4_lllT5_li,comdat
.Lfunc_end59:
	.size	_ZL20rocblas_trmvt_kernelILi512ELb1ELb1ELb0EPKPKfPKPfS4_EviT3_lllT4_lllT5_li, .Lfunc_end59-_ZL20rocblas_trmvt_kernelILi512ELb1ELb1ELb0EPKPKfPKPfS4_EviT3_lllT4_lllT5_li
                                        ; -- End function
	.set _ZL20rocblas_trmvt_kernelILi512ELb1ELb1ELb0EPKPKfPKPfS4_EviT3_lllT4_lllT5_li.num_vgpr, 10
	.set _ZL20rocblas_trmvt_kernelILi512ELb1ELb1ELb0EPKPKfPKPfS4_EviT3_lllT4_lllT5_li.num_agpr, 0
	.set _ZL20rocblas_trmvt_kernelILi512ELb1ELb1ELb0EPKPKfPKPfS4_EviT3_lllT4_lllT5_li.numbered_sgpr, 22
	.set _ZL20rocblas_trmvt_kernelILi512ELb1ELb1ELb0EPKPKfPKPfS4_EviT3_lllT4_lllT5_li.num_named_barrier, 0
	.set _ZL20rocblas_trmvt_kernelILi512ELb1ELb1ELb0EPKPKfPKPfS4_EviT3_lllT4_lllT5_li.private_seg_size, 0
	.set _ZL20rocblas_trmvt_kernelILi512ELb1ELb1ELb0EPKPKfPKPfS4_EviT3_lllT4_lllT5_li.uses_vcc, 1
	.set _ZL20rocblas_trmvt_kernelILi512ELb1ELb1ELb0EPKPKfPKPfS4_EviT3_lllT4_lllT5_li.uses_flat_scratch, 0
	.set _ZL20rocblas_trmvt_kernelILi512ELb1ELb1ELb0EPKPKfPKPfS4_EviT3_lllT4_lllT5_li.has_dyn_sized_stack, 0
	.set _ZL20rocblas_trmvt_kernelILi512ELb1ELb1ELb0EPKPKfPKPfS4_EviT3_lllT4_lllT5_li.has_recursion, 0
	.set _ZL20rocblas_trmvt_kernelILi512ELb1ELb1ELb0EPKPKfPKPfS4_EviT3_lllT4_lllT5_li.has_indirect_call, 0
	.section	.AMDGPU.csdata,"",@progbits
; Kernel info:
; codeLenInByte = 1076
; TotalNumSgprs: 24
; NumVgprs: 10
; ScratchSize: 0
; MemoryBound: 0
; FloatMode: 240
; IeeeMode: 1
; LDSByteSize: 128 bytes/workgroup (compile time only)
; SGPRBlocks: 0
; VGPRBlocks: 1
; NumSGPRsForWavesPerEU: 24
; NumVGPRsForWavesPerEU: 10
; Occupancy: 16
; WaveLimiterHint : 1
; COMPUTE_PGM_RSRC2:SCRATCH_EN: 0
; COMPUTE_PGM_RSRC2:USER_SGPR: 6
; COMPUTE_PGM_RSRC2:TRAP_HANDLER: 0
; COMPUTE_PGM_RSRC2:TGID_X_EN: 1
; COMPUTE_PGM_RSRC2:TGID_Y_EN: 0
; COMPUTE_PGM_RSRC2:TGID_Z_EN: 1
; COMPUTE_PGM_RSRC2:TIDIG_COMP_CNT: 0
	.section	.text._ZL20rocblas_trmvn_kernelILi64ELi16ELb0ELb1EPKPKdPKPdS4_EviT3_lllT4_lllT5_li,"axG",@progbits,_ZL20rocblas_trmvn_kernelILi64ELi16ELb0ELb1EPKPKdPKPdS4_EviT3_lllT4_lllT5_li,comdat
	.globl	_ZL20rocblas_trmvn_kernelILi64ELi16ELb0ELb1EPKPKdPKPdS4_EviT3_lllT4_lllT5_li ; -- Begin function _ZL20rocblas_trmvn_kernelILi64ELi16ELb0ELb1EPKPKdPKPdS4_EviT3_lllT4_lllT5_li
	.p2align	8
	.type	_ZL20rocblas_trmvn_kernelILi64ELi16ELb0ELb1EPKPKdPKPdS4_EviT3_lllT4_lllT5_li,@function
_ZL20rocblas_trmvn_kernelILi64ELi16ELb0ELb1EPKPKdPKPdS4_EviT3_lllT4_lllT5_li: ; @_ZL20rocblas_trmvn_kernelILi64ELi16ELb0ELb1EPKPKdPKPdS4_EviT3_lllT4_lllT5_li
; %bb.0:
	s_clause 0x1
	s_load_dwordx4 s[0:3], s[4:5], 0x8
	s_load_dwordx4 s[8:11], s[4:5], 0x28
	s_mov_b32 s12, s7
	s_mov_b32 s13, 0
	s_clause 0x1
	s_load_dword s18, s[4:5], 0x0
	s_load_dwordx2 s[14:15], s[4:5], 0x38
	s_lshl_b64 s[20:21], s[12:13], 3
	v_lshl_add_u32 v2, s6, 6, v0
	v_mov_b32_e32 v4, 0
	v_mov_b32_e32 v5, 0
	s_waitcnt lgkmcnt(0)
	s_add_u32 s16, s0, s20
	s_addc_u32 s17, s1, s21
	s_add_u32 s0, s8, s20
	s_addc_u32 s1, s9, s21
	v_cmp_gt_i32_e32 vcc_lo, s18, v2
	s_load_dwordx2 s[8:9], s[0:1], 0x0
	v_cmp_eq_u32_e64 s0, 0, v1
	s_and_b32 s0, s0, vcc_lo
	s_and_saveexec_b32 s1, s0
	s_cbranch_execz .LBB60_2
; %bb.1:
	v_ashrrev_i32_e32 v5, 31, v2
	v_mul_lo_u32 v6, s15, v2
	v_mad_u64_u32 v[3:4], null, s14, v2, 0
	s_lshl_b64 s[6:7], s[10:11], 3
	v_mul_lo_u32 v5, s14, v5
	s_waitcnt lgkmcnt(0)
	s_add_u32 s0, s8, s6
	s_addc_u32 s6, s9, s7
	v_add3_u32 v4, v4, v5, v6
	v_lshlrev_b64 v[3:4], 3, v[3:4]
	v_add_co_u32 v3, s0, s0, v3
	v_add_co_ci_u32_e64 v4, null, s6, v4, s0
	flat_load_dwordx2 v[4:5], v[3:4]
.LBB60_2:
	s_or_b32 exec_lo, exec_lo, s1
	s_load_dword s13, s[4:5], 0x6c
	s_mov_b32 s19, exec_lo
	v_cmpx_gt_i32_e64 s18, v1
	s_cbranch_execz .LBB60_8
; %bb.3:
	s_load_dwordx2 s[6:7], s[4:5], 0x18
	v_mad_u64_u32 v[8:9], null, s14, v1, 0
	s_load_dwordx2 s[16:17], s[16:17], 0x0
	s_lshl_b64 s[0:1], s[10:11], 3
	s_waitcnt lgkmcnt(0)
	s_add_u32 s8, s8, s0
	s_addc_u32 s9, s9, s1
	s_lshl_b64 s[0:1], s[2:3], 3
	s_lshl_b64 s[2:3], s[14:15], 7
	v_mad_u64_u32 v[6:7], null, s6, v1, 0
	v_mov_b32_e32 v3, v7
	s_waitcnt vmcnt(0)
	v_mad_u64_u32 v[10:11], null, s7, v1, v[3:4]
	v_mov_b32_e32 v3, v9
	s_lshl_b64 s[6:7], s[6:7], 7
	v_mov_b32_e32 v7, v10
	v_mad_u64_u32 v[9:10], null, s15, v1, v[3:4]
	v_ashrrev_i32_e32 v3, 31, v2
	v_lshlrev_b64 v[6:7], 3, v[6:7]
	v_lshlrev_b64 v[10:11], 3, v[2:3]
	v_add_co_u32 v3, s0, v6, s0
	v_add_co_ci_u32_e64 v12, null, s1, v7, s0
	v_lshlrev_b64 v[6:7], 3, v[8:9]
	v_add_co_u32 v3, s0, v3, v10
	v_add_co_ci_u32_e64 v9, null, v12, v11, s0
	v_add_co_u32 v6, s0, s8, v6
	v_add_co_ci_u32_e64 v7, null, s9, v7, s0
	;; [unrolled: 2-line block ×3, first 2 shown]
	v_mov_b32_e32 v3, v1
	s_mov_b32 s8, 0
	s_inst_prefetch 0x1
	s_branch .LBB60_5
	.p2align	6
.LBB60_4:                               ;   in Loop: Header=BB60_5 Depth=1
	s_or_b32 exec_lo, exec_lo, s1
	v_add_nc_u32_e32 v3, 16, v3
	v_add_co_u32 v6, s0, v6, s2
	v_add_co_ci_u32_e64 v7, null, s3, v7, s0
	v_cmp_le_i32_e64 s0, s18, v3
	v_add_co_u32 v8, s1, v8, s6
	v_add_co_ci_u32_e64 v9, null, s7, v9, s1
	s_or_b32 s8, s0, s8
	s_andn2_b32 exec_lo, exec_lo, s8
	s_cbranch_execz .LBB60_7
.LBB60_5:                               ; =>This Inner Loop Header: Depth=1
	s_mov_b32 s1, exec_lo
	v_cmpx_gt_i32_e64 v3, v2
	s_cbranch_execz .LBB60_4
; %bb.6:                                ;   in Loop: Header=BB60_5 Depth=1
	flat_load_dwordx2 v[10:11], v[8:9]
	flat_load_dwordx2 v[12:13], v[6:7]
	s_waitcnt vmcnt(0) lgkmcnt(0)
	v_fma_f64 v[4:5], v[10:11], v[12:13], v[4:5]
	s_branch .LBB60_4
.LBB60_7:
	s_inst_prefetch 0x2
	s_or_b32 exec_lo, exec_lo, s8
.LBB60_8:
	s_or_b32 exec_lo, exec_lo, s19
	v_lshlrev_b32_e32 v3, 3, v0
	s_waitcnt lgkmcnt(0)
	s_and_b32 s1, 0xffff, s13
	s_mov_b32 s2, exec_lo
	v_mad_u32_u24 v0, v1, s1, v0
	v_lshl_add_u32 v6, v1, 9, v3
	s_waitcnt vmcnt(0)
	ds_write_b64 v6, v[4:5]
	s_waitcnt lgkmcnt(0)
	s_barrier
	buffer_gl0_inv
	v_cmpx_gt_u32_e32 64, v0
	s_cbranch_execz .LBB60_11
; %bb.9:
	v_mul_u32_u24_e32 v0, s1, v1
	v_lshl_add_u32 v11, v0, 3, v3
	ds_read2st64_b64 v[3:6], v11 offset1:1
	ds_read2st64_b64 v[7:10], v11 offset0:2 offset1:3
	s_waitcnt lgkmcnt(1)
	v_add_f64 v[0:1], v[3:4], v[5:6]
	s_waitcnt lgkmcnt(0)
	v_add_f64 v[0:1], v[7:8], v[0:1]
	v_add_f64 v[0:1], v[9:10], v[0:1]
	ds_read2st64_b64 v[3:6], v11 offset0:4 offset1:5
	ds_read2st64_b64 v[7:10], v11 offset0:6 offset1:7
	s_waitcnt lgkmcnt(1)
	v_add_f64 v[0:1], v[3:4], v[0:1]
	v_add_f64 v[0:1], v[5:6], v[0:1]
	s_waitcnt lgkmcnt(0)
	v_add_f64 v[0:1], v[7:8], v[0:1]
	v_add_f64 v[0:1], v[9:10], v[0:1]
	ds_read2st64_b64 v[3:6], v11 offset0:8 offset1:9
	ds_read2st64_b64 v[7:10], v11 offset0:10 offset1:11
	s_waitcnt lgkmcnt(1)
	v_add_f64 v[0:1], v[3:4], v[0:1]
	;; [unrolled: 8-line block ×3, first 2 shown]
	v_add_f64 v[0:1], v[5:6], v[0:1]
	s_waitcnt lgkmcnt(0)
	v_add_f64 v[0:1], v[7:8], v[0:1]
	v_add_f64 v[0:1], v[9:10], v[0:1]
	ds_write_b64 v11, v[0:1]
	s_and_b32 exec_lo, exec_lo, vcc_lo
	s_cbranch_execz .LBB60_11
; %bb.10:
	s_load_dwordx4 s[0:3], s[4:5], 0x48
	v_ashrrev_i32_e32 v3, 31, v2
	v_lshlrev_b64 v[2:3], 3, v[2:3]
	s_waitcnt lgkmcnt(0)
	s_mul_i32 s3, s3, s12
	s_mul_hi_u32 s4, s2, s12
	s_mul_i32 s2, s2, s12
	s_add_i32 s3, s4, s3
	s_lshl_b64 s[2:3], s[2:3], 3
	s_add_u32 s0, s0, s2
	s_addc_u32 s1, s1, s3
	v_add_co_u32 v2, vcc_lo, s0, v2
	v_add_co_ci_u32_e64 v3, null, s1, v3, vcc_lo
	global_store_dwordx2 v[2:3], v[0:1], off
.LBB60_11:
	s_endpgm
	.section	.rodata,"a",@progbits
	.p2align	6, 0x0
	.amdhsa_kernel _ZL20rocblas_trmvn_kernelILi64ELi16ELb0ELb1EPKPKdPKPdS4_EviT3_lllT4_lllT5_li
		.amdhsa_group_segment_fixed_size 8192
		.amdhsa_private_segment_fixed_size 0
		.amdhsa_kernarg_size 352
		.amdhsa_user_sgpr_count 6
		.amdhsa_user_sgpr_private_segment_buffer 1
		.amdhsa_user_sgpr_dispatch_ptr 0
		.amdhsa_user_sgpr_queue_ptr 0
		.amdhsa_user_sgpr_kernarg_segment_ptr 1
		.amdhsa_user_sgpr_dispatch_id 0
		.amdhsa_user_sgpr_flat_scratch_init 0
		.amdhsa_user_sgpr_private_segment_size 0
		.amdhsa_wavefront_size32 1
		.amdhsa_uses_dynamic_stack 0
		.amdhsa_system_sgpr_private_segment_wavefront_offset 0
		.amdhsa_system_sgpr_workgroup_id_x 1
		.amdhsa_system_sgpr_workgroup_id_y 0
		.amdhsa_system_sgpr_workgroup_id_z 1
		.amdhsa_system_sgpr_workgroup_info 0
		.amdhsa_system_vgpr_workitem_id 1
		.amdhsa_next_free_vgpr 14
		.amdhsa_next_free_sgpr 22
		.amdhsa_reserve_vcc 1
		.amdhsa_reserve_flat_scratch 0
		.amdhsa_float_round_mode_32 0
		.amdhsa_float_round_mode_16_64 0
		.amdhsa_float_denorm_mode_32 3
		.amdhsa_float_denorm_mode_16_64 3
		.amdhsa_dx10_clamp 1
		.amdhsa_ieee_mode 1
		.amdhsa_fp16_overflow 0
		.amdhsa_workgroup_processor_mode 1
		.amdhsa_memory_ordered 1
		.amdhsa_forward_progress 1
		.amdhsa_shared_vgpr_count 0
		.amdhsa_exception_fp_ieee_invalid_op 0
		.amdhsa_exception_fp_denorm_src 0
		.amdhsa_exception_fp_ieee_div_zero 0
		.amdhsa_exception_fp_ieee_overflow 0
		.amdhsa_exception_fp_ieee_underflow 0
		.amdhsa_exception_fp_ieee_inexact 0
		.amdhsa_exception_int_div_zero 0
	.end_amdhsa_kernel
	.section	.text._ZL20rocblas_trmvn_kernelILi64ELi16ELb0ELb1EPKPKdPKPdS4_EviT3_lllT4_lllT5_li,"axG",@progbits,_ZL20rocblas_trmvn_kernelILi64ELi16ELb0ELb1EPKPKdPKPdS4_EviT3_lllT4_lllT5_li,comdat
.Lfunc_end60:
	.size	_ZL20rocblas_trmvn_kernelILi64ELi16ELb0ELb1EPKPKdPKPdS4_EviT3_lllT4_lllT5_li, .Lfunc_end60-_ZL20rocblas_trmvn_kernelILi64ELi16ELb0ELb1EPKPKdPKPdS4_EviT3_lllT4_lllT5_li
                                        ; -- End function
	.set _ZL20rocblas_trmvn_kernelILi64ELi16ELb0ELb1EPKPKdPKPdS4_EviT3_lllT4_lllT5_li.num_vgpr, 14
	.set _ZL20rocblas_trmvn_kernelILi64ELi16ELb0ELb1EPKPKdPKPdS4_EviT3_lllT4_lllT5_li.num_agpr, 0
	.set _ZL20rocblas_trmvn_kernelILi64ELi16ELb0ELb1EPKPKdPKPdS4_EviT3_lllT4_lllT5_li.numbered_sgpr, 22
	.set _ZL20rocblas_trmvn_kernelILi64ELi16ELb0ELb1EPKPKdPKPdS4_EviT3_lllT4_lllT5_li.num_named_barrier, 0
	.set _ZL20rocblas_trmvn_kernelILi64ELi16ELb0ELb1EPKPKdPKPdS4_EviT3_lllT4_lllT5_li.private_seg_size, 0
	.set _ZL20rocblas_trmvn_kernelILi64ELi16ELb0ELb1EPKPKdPKPdS4_EviT3_lllT4_lllT5_li.uses_vcc, 1
	.set _ZL20rocblas_trmvn_kernelILi64ELi16ELb0ELb1EPKPKdPKPdS4_EviT3_lllT4_lllT5_li.uses_flat_scratch, 0
	.set _ZL20rocblas_trmvn_kernelILi64ELi16ELb0ELb1EPKPKdPKPdS4_EviT3_lllT4_lllT5_li.has_dyn_sized_stack, 0
	.set _ZL20rocblas_trmvn_kernelILi64ELi16ELb0ELb1EPKPKdPKPdS4_EviT3_lllT4_lllT5_li.has_recursion, 0
	.set _ZL20rocblas_trmvn_kernelILi64ELi16ELb0ELb1EPKPKdPKPdS4_EviT3_lllT4_lllT5_li.has_indirect_call, 0
	.section	.AMDGPU.csdata,"",@progbits
; Kernel info:
; codeLenInByte = 964
; TotalNumSgprs: 24
; NumVgprs: 14
; ScratchSize: 0
; MemoryBound: 1
; FloatMode: 240
; IeeeMode: 1
; LDSByteSize: 8192 bytes/workgroup (compile time only)
; SGPRBlocks: 0
; VGPRBlocks: 1
; NumSGPRsForWavesPerEU: 24
; NumVGPRsForWavesPerEU: 14
; Occupancy: 16
; WaveLimiterHint : 1
; COMPUTE_PGM_RSRC2:SCRATCH_EN: 0
; COMPUTE_PGM_RSRC2:USER_SGPR: 6
; COMPUTE_PGM_RSRC2:TRAP_HANDLER: 0
; COMPUTE_PGM_RSRC2:TGID_X_EN: 1
; COMPUTE_PGM_RSRC2:TGID_Y_EN: 0
; COMPUTE_PGM_RSRC2:TGID_Z_EN: 1
; COMPUTE_PGM_RSRC2:TIDIG_COMP_CNT: 1
	.section	.text._ZL20rocblas_trmvt_kernelILi512ELb0ELb0ELb1EPKPKdPKPdS4_EviT3_lllT4_lllT5_li,"axG",@progbits,_ZL20rocblas_trmvt_kernelILi512ELb0ELb0ELb1EPKPKdPKPdS4_EviT3_lllT4_lllT5_li,comdat
	.globl	_ZL20rocblas_trmvt_kernelILi512ELb0ELb0ELb1EPKPKdPKPdS4_EviT3_lllT4_lllT5_li ; -- Begin function _ZL20rocblas_trmvt_kernelILi512ELb0ELb0ELb1EPKPKdPKPdS4_EviT3_lllT4_lllT5_li
	.p2align	8
	.type	_ZL20rocblas_trmvt_kernelILi512ELb0ELb0ELb1EPKPKdPKPdS4_EviT3_lllT4_lllT5_li,@function
_ZL20rocblas_trmvt_kernelILi512ELb0ELb0ELb1EPKPKdPKPdS4_EviT3_lllT4_lllT5_li: ; @_ZL20rocblas_trmvt_kernelILi512ELb0ELb0ELb1EPKPKdPKPdS4_EviT3_lllT4_lllT5_li
; %bb.0:
	s_clause 0x1
	s_load_dwordx4 s[8:11], s[4:5], 0x8
	s_load_dwordx4 s[0:3], s[4:5], 0x28
	s_mov_b32 s12, s7
	s_mov_b32 s13, 0
	v_mov_b32_e32 v1, 0
	s_lshl_b64 s[14:15], s[12:13], 3
	v_mov_b32_e32 v2, 0
	v_cmp_eq_u32_e32 vcc_lo, 0, v0
	s_waitcnt lgkmcnt(0)
	s_add_u32 s16, s8, s14
	s_addc_u32 s17, s9, s15
	s_add_u32 s0, s0, s14
	s_addc_u32 s1, s1, s15
	s_load_dwordx2 s[8:9], s[4:5], 0x38
	s_load_dwordx2 s[14:15], s[0:1], 0x0
	s_ashr_i32 s7, s6, 31
	s_and_saveexec_b32 s0, vcc_lo
	s_cbranch_execz .LBB61_2
; %bb.1:
	s_lshl_b64 s[18:19], s[2:3], 3
	s_waitcnt lgkmcnt(0)
	s_mul_i32 s1, s8, s7
	s_add_u32 s13, s14, s18
	s_mul_hi_u32 s18, s8, s6
	s_addc_u32 s20, s15, s19
	s_add_i32 s1, s18, s1
	s_mul_i32 s18, s9, s6
	s_add_i32 s19, s1, s18
	s_mul_i32 s18, s8, s6
	s_lshl_b64 s[18:19], s[18:19], 3
	s_add_u32 s18, s13, s18
	s_addc_u32 s19, s20, s19
	v_mov_b32_e32 v1, s18
	v_mov_b32_e32 v2, s19
	flat_load_dwordx2 v[1:2], v[1:2]
	s_waitcnt vmcnt(0) lgkmcnt(0)
	v_add_f64 v[1:2], v[1:2], 0
.LBB61_2:
	s_or_b32 exec_lo, exec_lo, s0
	s_load_dword s18, s[4:5], 0x0
	s_waitcnt lgkmcnt(0)
	v_cmp_gt_i32_e64 s0, s18, v0
	s_and_saveexec_b32 s13, s0
	s_cbranch_execz .LBB61_8
; %bb.3:
	s_load_dwordx2 s[16:17], s[16:17], 0x0
	s_load_dwordx2 s[20:21], s[4:5], 0x18
	v_mad_u64_u32 v[3:4], null, s8, v0, 0
	v_cndmask_b32_e64 v6, 0, v0, s0
	s_lshl_b64 s[0:1], s[10:11], 3
	v_mad_u64_u32 v[4:5], null, s9, v0, v[4:5]
	v_lshlrev_b32_e32 v5, 3, v6
	s_waitcnt lgkmcnt(0)
	s_add_u32 s10, s16, s0
	s_mul_i32 s11, s20, s7
	s_mul_hi_u32 s16, s20, s6
	s_mul_i32 s19, s21, s6
	s_addc_u32 s17, s17, s1
	s_add_i32 s1, s16, s11
	v_add_co_u32 v7, s10, s10, v5
	s_mul_i32 s0, s20, s6
	s_add_i32 s1, s1, s19
	v_add_co_ci_u32_e64 v8, null, s17, 0, s10
	s_lshl_b64 s[0:1], s[0:1], 3
	v_lshlrev_b64 v[5:6], 3, v[3:4]
	s_lshl_b64 s[2:3], s[2:3], 3
	v_add_co_u32 v3, s0, v7, s0
	v_add_co_ci_u32_e64 v4, null, s1, v8, s0
	s_add_u32 s0, s14, s2
	s_addc_u32 s1, s15, s3
	v_add_co_u32 v5, s0, s0, v5
	v_add_co_ci_u32_e64 v6, null, s1, v6, s0
	v_mov_b32_e32 v7, v0
	s_mov_b32 s10, 0
	s_lshl_b64 s[2:3], s[8:9], 12
	s_inst_prefetch 0x1
	s_branch .LBB61_5
	.p2align	6
.LBB61_4:                               ;   in Loop: Header=BB61_5 Depth=1
	s_or_b32 exec_lo, exec_lo, s1
	v_add_nc_u32_e32 v7, 0x200, v7
	v_add_co_u32 v3, s0, 0x1000, v3
	v_add_co_ci_u32_e64 v4, null, 0, v4, s0
	v_cmp_le_i32_e64 s0, s18, v7
	v_add_co_u32 v5, s1, v5, s2
	v_add_co_ci_u32_e64 v6, null, s3, v6, s1
	s_or_b32 s10, s0, s10
	s_andn2_b32 exec_lo, exec_lo, s10
	s_cbranch_execz .LBB61_7
.LBB61_5:                               ; =>This Inner Loop Header: Depth=1
	s_mov_b32 s1, exec_lo
	v_cmpx_gt_i32_e64 s6, v7
	s_cbranch_execz .LBB61_4
; %bb.6:                                ;   in Loop: Header=BB61_5 Depth=1
	flat_load_dwordx2 v[8:9], v[3:4]
	flat_load_dwordx2 v[10:11], v[5:6]
	s_waitcnt vmcnt(0) lgkmcnt(0)
	v_fma_f64 v[1:2], v[8:9], v[10:11], v[1:2]
	s_branch .LBB61_4
.LBB61_7:
	s_inst_prefetch 0x2
	s_or_b32 exec_lo, exec_lo, s10
.LBB61_8:
	s_or_b32 exec_lo, exec_lo, s13
	v_and_b32_e32 v10, 31, v0
	v_cmp_gt_u32_e64 s0, 32, v0
	v_lshlrev_b32_e32 v5, 3, v10
	s_and_saveexec_b32 s1, s0
; %bb.9:
	v_mov_b32_e32 v3, 0
	v_mov_b32_e32 v4, v3
	ds_write_b64 v5, v[3:4]
; %bb.10:
	s_or_b32 exec_lo, exec_lo, s1
	v_mbcnt_lo_u32_b32 v9, -1, 0
	s_mov_b32 s2, exec_lo
	s_waitcnt lgkmcnt(0)
	s_barrier
	buffer_gl0_inv
	v_lshl_or_b32 v4, v9, 2, 64
	v_cmp_gt_u32_e64 s1, 24, v9
	ds_bpermute_b32 v3, v4, v1
	ds_bpermute_b32 v4, v4, v2
	s_waitcnt lgkmcnt(0)
	v_add_f64 v[1:2], v[1:2], v[3:4]
	v_cndmask_b32_e64 v3, 0, 8, s1
	v_cmp_gt_u32_e64 s1, 28, v9
	v_add_lshl_u32 v6, v3, v9, 2
	ds_bpermute_b32 v3, v6, v1
	ds_bpermute_b32 v4, v6, v2
	s_waitcnt lgkmcnt(0)
	v_add_f64 v[1:2], v[1:2], v[3:4]
	v_cndmask_b32_e64 v3, 0, 4, s1
	v_cmp_gt_u32_e64 s1, 30, v9
	v_add_lshl_u32 v7, v3, v9, 2
	ds_bpermute_b32 v3, v7, v1
	ds_bpermute_b32 v4, v7, v2
	s_waitcnt lgkmcnt(0)
	v_add_f64 v[1:2], v[1:2], v[3:4]
	v_cndmask_b32_e64 v3, 0, 2, s1
	v_cmp_ne_u32_e64 s1, 31, v9
	v_add_lshl_u32 v8, v3, v9, 2
	ds_bpermute_b32 v3, v8, v1
	ds_bpermute_b32 v4, v8, v2
	s_waitcnt lgkmcnt(0)
	v_add_f64 v[1:2], v[1:2], v[3:4]
	v_add_co_ci_u32_e64 v3, null, 0, v9, s1
	v_lshlrev_b32_e32 v9, 2, v3
	ds_bpermute_b32 v3, v9, v1
	ds_bpermute_b32 v4, v9, v2
	v_cmpx_eq_u32_e32 0, v10
	s_cbranch_execz .LBB61_12
; %bb.11:
	s_waitcnt lgkmcnt(0)
	v_add_f64 v[1:2], v[1:2], v[3:4]
	v_lshrrev_b32_e32 v3, 2, v0
	v_and_b32_e32 v3, 0x78, v3
	ds_write_b64 v3, v[1:2]
.LBB61_12:
	s_or_b32 exec_lo, exec_lo, s2
	v_mov_b32_e32 v1, 0
	v_mov_b32_e32 v2, 0
	s_mov_b32 s2, exec_lo
	s_waitcnt lgkmcnt(0)
	s_barrier
	buffer_gl0_inv
	v_cmpx_gt_u32_e32 16, v0
	s_cbranch_execnz .LBB61_16
; %bb.13:
	s_or_b32 exec_lo, exec_lo, s2
	s_and_saveexec_b32 s1, s0
	s_cbranch_execnz .LBB61_17
.LBB61_14:
	s_or_b32 exec_lo, exec_lo, s1
	s_and_saveexec_b32 s0, vcc_lo
	s_cbranch_execnz .LBB61_18
.LBB61_15:
	s_endpgm
.LBB61_16:
	ds_read_b64 v[1:2], v5
	s_or_b32 exec_lo, exec_lo, s2
	s_and_saveexec_b32 s1, s0
	s_cbranch_execz .LBB61_14
.LBB61_17:
	s_waitcnt lgkmcnt(0)
	ds_bpermute_b32 v3, v6, v1
	ds_bpermute_b32 v4, v6, v2
	s_waitcnt lgkmcnt(0)
	v_add_f64 v[0:1], v[1:2], v[3:4]
	ds_bpermute_b32 v2, v7, v0
	ds_bpermute_b32 v3, v7, v1
	s_waitcnt lgkmcnt(0)
	v_add_f64 v[0:1], v[0:1], v[2:3]
	;; [unrolled: 4-line block ×4, first 2 shown]
	s_or_b32 exec_lo, exec_lo, s1
	s_and_saveexec_b32 s0, vcc_lo
	s_cbranch_execz .LBB61_15
.LBB61_18:
	s_load_dwordx4 s[0:3], s[4:5], 0x48
	v_mov_b32_e32 v0, 0
	s_waitcnt lgkmcnt(0)
	s_mul_i32 s3, s3, s12
	s_mul_hi_u32 s4, s2, s12
	s_mul_i32 s2, s2, s12
	s_add_i32 s3, s4, s3
	s_lshl_b64 s[2:3], s[2:3], 3
	s_add_u32 s2, s0, s2
	s_addc_u32 s3, s1, s3
	s_lshl_b64 s[0:1], s[6:7], 3
	s_add_u32 s0, s2, s0
	s_addc_u32 s1, s3, s1
	global_store_dwordx2 v0, v[1:2], s[0:1]
	s_endpgm
	.section	.rodata,"a",@progbits
	.p2align	6, 0x0
	.amdhsa_kernel _ZL20rocblas_trmvt_kernelILi512ELb0ELb0ELb1EPKPKdPKPdS4_EviT3_lllT4_lllT5_li
		.amdhsa_group_segment_fixed_size 256
		.amdhsa_private_segment_fixed_size 0
		.amdhsa_kernarg_size 92
		.amdhsa_user_sgpr_count 6
		.amdhsa_user_sgpr_private_segment_buffer 1
		.amdhsa_user_sgpr_dispatch_ptr 0
		.amdhsa_user_sgpr_queue_ptr 0
		.amdhsa_user_sgpr_kernarg_segment_ptr 1
		.amdhsa_user_sgpr_dispatch_id 0
		.amdhsa_user_sgpr_flat_scratch_init 0
		.amdhsa_user_sgpr_private_segment_size 0
		.amdhsa_wavefront_size32 1
		.amdhsa_uses_dynamic_stack 0
		.amdhsa_system_sgpr_private_segment_wavefront_offset 0
		.amdhsa_system_sgpr_workgroup_id_x 1
		.amdhsa_system_sgpr_workgroup_id_y 0
		.amdhsa_system_sgpr_workgroup_id_z 1
		.amdhsa_system_sgpr_workgroup_info 0
		.amdhsa_system_vgpr_workitem_id 0
		.amdhsa_next_free_vgpr 12
		.amdhsa_next_free_sgpr 22
		.amdhsa_reserve_vcc 1
		.amdhsa_reserve_flat_scratch 0
		.amdhsa_float_round_mode_32 0
		.amdhsa_float_round_mode_16_64 0
		.amdhsa_float_denorm_mode_32 3
		.amdhsa_float_denorm_mode_16_64 3
		.amdhsa_dx10_clamp 1
		.amdhsa_ieee_mode 1
		.amdhsa_fp16_overflow 0
		.amdhsa_workgroup_processor_mode 1
		.amdhsa_memory_ordered 1
		.amdhsa_forward_progress 1
		.amdhsa_shared_vgpr_count 0
		.amdhsa_exception_fp_ieee_invalid_op 0
		.amdhsa_exception_fp_denorm_src 0
		.amdhsa_exception_fp_ieee_div_zero 0
		.amdhsa_exception_fp_ieee_overflow 0
		.amdhsa_exception_fp_ieee_underflow 0
		.amdhsa_exception_fp_ieee_inexact 0
		.amdhsa_exception_int_div_zero 0
	.end_amdhsa_kernel
	.section	.text._ZL20rocblas_trmvt_kernelILi512ELb0ELb0ELb1EPKPKdPKPdS4_EviT3_lllT4_lllT5_li,"axG",@progbits,_ZL20rocblas_trmvt_kernelILi512ELb0ELb0ELb1EPKPKdPKPdS4_EviT3_lllT4_lllT5_li,comdat
.Lfunc_end61:
	.size	_ZL20rocblas_trmvt_kernelILi512ELb0ELb0ELb1EPKPKdPKPdS4_EviT3_lllT4_lllT5_li, .Lfunc_end61-_ZL20rocblas_trmvt_kernelILi512ELb0ELb0ELb1EPKPKdPKPdS4_EviT3_lllT4_lllT5_li
                                        ; -- End function
	.set _ZL20rocblas_trmvt_kernelILi512ELb0ELb0ELb1EPKPKdPKPdS4_EviT3_lllT4_lllT5_li.num_vgpr, 12
	.set _ZL20rocblas_trmvt_kernelILi512ELb0ELb0ELb1EPKPKdPKPdS4_EviT3_lllT4_lllT5_li.num_agpr, 0
	.set _ZL20rocblas_trmvt_kernelILi512ELb0ELb0ELb1EPKPKdPKPdS4_EviT3_lllT4_lllT5_li.numbered_sgpr, 22
	.set _ZL20rocblas_trmvt_kernelILi512ELb0ELb0ELb1EPKPKdPKPdS4_EviT3_lllT4_lllT5_li.num_named_barrier, 0
	.set _ZL20rocblas_trmvt_kernelILi512ELb0ELb0ELb1EPKPKdPKPdS4_EviT3_lllT4_lllT5_li.private_seg_size, 0
	.set _ZL20rocblas_trmvt_kernelILi512ELb0ELb0ELb1EPKPKdPKPdS4_EviT3_lllT4_lllT5_li.uses_vcc, 1
	.set _ZL20rocblas_trmvt_kernelILi512ELb0ELb0ELb1EPKPKdPKPdS4_EviT3_lllT4_lllT5_li.uses_flat_scratch, 0
	.set _ZL20rocblas_trmvt_kernelILi512ELb0ELb0ELb1EPKPKdPKPdS4_EviT3_lllT4_lllT5_li.has_dyn_sized_stack, 0
	.set _ZL20rocblas_trmvt_kernelILi512ELb0ELb0ELb1EPKPKdPKPdS4_EviT3_lllT4_lllT5_li.has_recursion, 0
	.set _ZL20rocblas_trmvt_kernelILi512ELb0ELb0ELb1EPKPKdPKPdS4_EviT3_lllT4_lllT5_li.has_indirect_call, 0
	.section	.AMDGPU.csdata,"",@progbits
; Kernel info:
; codeLenInByte = 1132
; TotalNumSgprs: 24
; NumVgprs: 12
; ScratchSize: 0
; MemoryBound: 1
; FloatMode: 240
; IeeeMode: 1
; LDSByteSize: 256 bytes/workgroup (compile time only)
; SGPRBlocks: 0
; VGPRBlocks: 1
; NumSGPRsForWavesPerEU: 24
; NumVGPRsForWavesPerEU: 12
; Occupancy: 16
; WaveLimiterHint : 1
; COMPUTE_PGM_RSRC2:SCRATCH_EN: 0
; COMPUTE_PGM_RSRC2:USER_SGPR: 6
; COMPUTE_PGM_RSRC2:TRAP_HANDLER: 0
; COMPUTE_PGM_RSRC2:TGID_X_EN: 1
; COMPUTE_PGM_RSRC2:TGID_Y_EN: 0
; COMPUTE_PGM_RSRC2:TGID_Z_EN: 1
; COMPUTE_PGM_RSRC2:TIDIG_COMP_CNT: 0
	.section	.text._ZL20rocblas_trmvt_kernelILi512ELb0ELb1ELb1EPKPKdPKPdS4_EviT3_lllT4_lllT5_li,"axG",@progbits,_ZL20rocblas_trmvt_kernelILi512ELb0ELb1ELb1EPKPKdPKPdS4_EviT3_lllT4_lllT5_li,comdat
	.globl	_ZL20rocblas_trmvt_kernelILi512ELb0ELb1ELb1EPKPKdPKPdS4_EviT3_lllT4_lllT5_li ; -- Begin function _ZL20rocblas_trmvt_kernelILi512ELb0ELb1ELb1EPKPKdPKPdS4_EviT3_lllT4_lllT5_li
	.p2align	8
	.type	_ZL20rocblas_trmvt_kernelILi512ELb0ELb1ELb1EPKPKdPKPdS4_EviT3_lllT4_lllT5_li,@function
_ZL20rocblas_trmvt_kernelILi512ELb0ELb1ELb1EPKPKdPKPdS4_EviT3_lllT4_lllT5_li: ; @_ZL20rocblas_trmvt_kernelILi512ELb0ELb1ELb1EPKPKdPKPdS4_EviT3_lllT4_lllT5_li
; %bb.0:
	s_clause 0x1
	s_load_dwordx4 s[8:11], s[4:5], 0x8
	s_load_dwordx4 s[0:3], s[4:5], 0x28
	s_mov_b32 s12, s7
	s_mov_b32 s13, 0
	v_mov_b32_e32 v1, 0
	s_lshl_b64 s[14:15], s[12:13], 3
	v_mov_b32_e32 v2, 0
	v_cmp_eq_u32_e32 vcc_lo, 0, v0
	s_waitcnt lgkmcnt(0)
	s_add_u32 s16, s8, s14
	s_addc_u32 s17, s9, s15
	s_add_u32 s0, s0, s14
	s_addc_u32 s1, s1, s15
	s_load_dwordx2 s[8:9], s[4:5], 0x38
	s_load_dwordx2 s[14:15], s[0:1], 0x0
	s_ashr_i32 s7, s6, 31
	s_and_saveexec_b32 s0, vcc_lo
	s_cbranch_execz .LBB62_2
; %bb.1:
	s_lshl_b64 s[18:19], s[2:3], 3
	s_waitcnt lgkmcnt(0)
	s_mul_i32 s1, s8, s7
	s_add_u32 s13, s14, s18
	s_mul_hi_u32 s18, s8, s6
	s_addc_u32 s20, s15, s19
	s_add_i32 s1, s18, s1
	s_mul_i32 s18, s9, s6
	s_add_i32 s19, s1, s18
	s_mul_i32 s18, s8, s6
	s_lshl_b64 s[18:19], s[18:19], 3
	s_add_u32 s18, s13, s18
	s_addc_u32 s19, s20, s19
	v_mov_b32_e32 v1, s18
	v_mov_b32_e32 v2, s19
	flat_load_dwordx2 v[1:2], v[1:2]
	s_waitcnt vmcnt(0) lgkmcnt(0)
	v_add_f64 v[1:2], v[1:2], 0
.LBB62_2:
	s_or_b32 exec_lo, exec_lo, s0
	s_load_dword s18, s[4:5], 0x0
	s_waitcnt lgkmcnt(0)
	v_cmp_gt_i32_e64 s0, s18, v0
	s_and_saveexec_b32 s13, s0
	s_cbranch_execz .LBB62_8
; %bb.3:
	s_load_dwordx2 s[16:17], s[16:17], 0x0
	s_load_dwordx2 s[20:21], s[4:5], 0x18
	v_mad_u64_u32 v[3:4], null, s8, v0, 0
	v_cndmask_b32_e64 v6, 0, v0, s0
	s_lshl_b64 s[0:1], s[10:11], 3
	v_mad_u64_u32 v[4:5], null, s9, v0, v[4:5]
	v_lshlrev_b32_e32 v5, 3, v6
	s_waitcnt lgkmcnt(0)
	s_add_u32 s10, s16, s0
	s_mul_i32 s11, s20, s7
	s_mul_hi_u32 s16, s20, s6
	s_mul_i32 s19, s21, s6
	s_addc_u32 s17, s17, s1
	s_add_i32 s1, s16, s11
	v_add_co_u32 v7, s10, s10, v5
	s_mul_i32 s0, s20, s6
	s_add_i32 s1, s1, s19
	v_add_co_ci_u32_e64 v8, null, s17, 0, s10
	s_lshl_b64 s[0:1], s[0:1], 3
	v_lshlrev_b64 v[5:6], 3, v[3:4]
	s_lshl_b64 s[2:3], s[2:3], 3
	v_add_co_u32 v3, s0, v7, s0
	v_add_co_ci_u32_e64 v4, null, s1, v8, s0
	s_add_u32 s0, s14, s2
	s_addc_u32 s1, s15, s3
	v_add_co_u32 v5, s0, s0, v5
	v_add_co_ci_u32_e64 v6, null, s1, v6, s0
	v_mov_b32_e32 v7, v0
	s_mov_b32 s10, 0
	s_lshl_b64 s[2:3], s[8:9], 12
	s_inst_prefetch 0x1
	s_branch .LBB62_5
	.p2align	6
.LBB62_4:                               ;   in Loop: Header=BB62_5 Depth=1
	s_or_b32 exec_lo, exec_lo, s1
	v_add_nc_u32_e32 v7, 0x200, v7
	v_add_co_u32 v3, s0, 0x1000, v3
	v_add_co_ci_u32_e64 v4, null, 0, v4, s0
	v_cmp_le_i32_e64 s0, s18, v7
	v_add_co_u32 v5, s1, v5, s2
	v_add_co_ci_u32_e64 v6, null, s3, v6, s1
	s_or_b32 s10, s0, s10
	s_andn2_b32 exec_lo, exec_lo, s10
	s_cbranch_execz .LBB62_7
.LBB62_5:                               ; =>This Inner Loop Header: Depth=1
	s_mov_b32 s1, exec_lo
	v_cmpx_gt_i32_e64 s6, v7
	s_cbranch_execz .LBB62_4
; %bb.6:                                ;   in Loop: Header=BB62_5 Depth=1
	flat_load_dwordx2 v[8:9], v[3:4]
	flat_load_dwordx2 v[10:11], v[5:6]
	s_waitcnt vmcnt(0) lgkmcnt(0)
	v_fma_f64 v[1:2], v[8:9], v[10:11], v[1:2]
	s_branch .LBB62_4
.LBB62_7:
	s_inst_prefetch 0x2
	s_or_b32 exec_lo, exec_lo, s10
.LBB62_8:
	s_or_b32 exec_lo, exec_lo, s13
	v_and_b32_e32 v10, 31, v0
	v_cmp_gt_u32_e64 s0, 32, v0
	v_lshlrev_b32_e32 v5, 3, v10
	s_and_saveexec_b32 s1, s0
; %bb.9:
	v_mov_b32_e32 v3, 0
	v_mov_b32_e32 v4, v3
	ds_write_b64 v5, v[3:4]
; %bb.10:
	s_or_b32 exec_lo, exec_lo, s1
	v_mbcnt_lo_u32_b32 v9, -1, 0
	s_mov_b32 s2, exec_lo
	s_waitcnt lgkmcnt(0)
	s_barrier
	buffer_gl0_inv
	v_lshl_or_b32 v4, v9, 2, 64
	v_cmp_gt_u32_e64 s1, 24, v9
	ds_bpermute_b32 v3, v4, v1
	ds_bpermute_b32 v4, v4, v2
	s_waitcnt lgkmcnt(0)
	v_add_f64 v[1:2], v[1:2], v[3:4]
	v_cndmask_b32_e64 v3, 0, 8, s1
	v_cmp_gt_u32_e64 s1, 28, v9
	v_add_lshl_u32 v6, v3, v9, 2
	ds_bpermute_b32 v3, v6, v1
	ds_bpermute_b32 v4, v6, v2
	s_waitcnt lgkmcnt(0)
	v_add_f64 v[1:2], v[1:2], v[3:4]
	v_cndmask_b32_e64 v3, 0, 4, s1
	v_cmp_gt_u32_e64 s1, 30, v9
	v_add_lshl_u32 v7, v3, v9, 2
	ds_bpermute_b32 v3, v7, v1
	ds_bpermute_b32 v4, v7, v2
	s_waitcnt lgkmcnt(0)
	v_add_f64 v[1:2], v[1:2], v[3:4]
	v_cndmask_b32_e64 v3, 0, 2, s1
	v_cmp_ne_u32_e64 s1, 31, v9
	v_add_lshl_u32 v8, v3, v9, 2
	ds_bpermute_b32 v3, v8, v1
	ds_bpermute_b32 v4, v8, v2
	s_waitcnt lgkmcnt(0)
	v_add_f64 v[1:2], v[1:2], v[3:4]
	v_add_co_ci_u32_e64 v3, null, 0, v9, s1
	v_lshlrev_b32_e32 v9, 2, v3
	ds_bpermute_b32 v3, v9, v1
	ds_bpermute_b32 v4, v9, v2
	v_cmpx_eq_u32_e32 0, v10
	s_cbranch_execz .LBB62_12
; %bb.11:
	s_waitcnt lgkmcnt(0)
	v_add_f64 v[1:2], v[1:2], v[3:4]
	v_lshrrev_b32_e32 v3, 2, v0
	v_and_b32_e32 v3, 0x78, v3
	ds_write_b64 v3, v[1:2]
.LBB62_12:
	s_or_b32 exec_lo, exec_lo, s2
	v_mov_b32_e32 v1, 0
	v_mov_b32_e32 v2, 0
	s_mov_b32 s2, exec_lo
	s_waitcnt lgkmcnt(0)
	s_barrier
	buffer_gl0_inv
	v_cmpx_gt_u32_e32 16, v0
	s_cbranch_execnz .LBB62_16
; %bb.13:
	s_or_b32 exec_lo, exec_lo, s2
	s_and_saveexec_b32 s1, s0
	s_cbranch_execnz .LBB62_17
.LBB62_14:
	s_or_b32 exec_lo, exec_lo, s1
	s_and_saveexec_b32 s0, vcc_lo
	s_cbranch_execnz .LBB62_18
.LBB62_15:
	s_endpgm
.LBB62_16:
	ds_read_b64 v[1:2], v5
	s_or_b32 exec_lo, exec_lo, s2
	s_and_saveexec_b32 s1, s0
	s_cbranch_execz .LBB62_14
.LBB62_17:
	s_waitcnt lgkmcnt(0)
	ds_bpermute_b32 v3, v6, v1
	ds_bpermute_b32 v4, v6, v2
	s_waitcnt lgkmcnt(0)
	v_add_f64 v[0:1], v[1:2], v[3:4]
	ds_bpermute_b32 v2, v7, v0
	ds_bpermute_b32 v3, v7, v1
	s_waitcnt lgkmcnt(0)
	v_add_f64 v[0:1], v[0:1], v[2:3]
	;; [unrolled: 4-line block ×4, first 2 shown]
	s_or_b32 exec_lo, exec_lo, s1
	s_and_saveexec_b32 s0, vcc_lo
	s_cbranch_execz .LBB62_15
.LBB62_18:
	s_load_dwordx4 s[0:3], s[4:5], 0x48
	v_mov_b32_e32 v0, 0
	s_waitcnt lgkmcnt(0)
	s_mul_i32 s3, s3, s12
	s_mul_hi_u32 s4, s2, s12
	s_mul_i32 s2, s2, s12
	s_add_i32 s3, s4, s3
	s_lshl_b64 s[2:3], s[2:3], 3
	s_add_u32 s2, s0, s2
	s_addc_u32 s3, s1, s3
	s_lshl_b64 s[0:1], s[6:7], 3
	s_add_u32 s0, s2, s0
	s_addc_u32 s1, s3, s1
	global_store_dwordx2 v0, v[1:2], s[0:1]
	s_endpgm
	.section	.rodata,"a",@progbits
	.p2align	6, 0x0
	.amdhsa_kernel _ZL20rocblas_trmvt_kernelILi512ELb0ELb1ELb1EPKPKdPKPdS4_EviT3_lllT4_lllT5_li
		.amdhsa_group_segment_fixed_size 256
		.amdhsa_private_segment_fixed_size 0
		.amdhsa_kernarg_size 92
		.amdhsa_user_sgpr_count 6
		.amdhsa_user_sgpr_private_segment_buffer 1
		.amdhsa_user_sgpr_dispatch_ptr 0
		.amdhsa_user_sgpr_queue_ptr 0
		.amdhsa_user_sgpr_kernarg_segment_ptr 1
		.amdhsa_user_sgpr_dispatch_id 0
		.amdhsa_user_sgpr_flat_scratch_init 0
		.amdhsa_user_sgpr_private_segment_size 0
		.amdhsa_wavefront_size32 1
		.amdhsa_uses_dynamic_stack 0
		.amdhsa_system_sgpr_private_segment_wavefront_offset 0
		.amdhsa_system_sgpr_workgroup_id_x 1
		.amdhsa_system_sgpr_workgroup_id_y 0
		.amdhsa_system_sgpr_workgroup_id_z 1
		.amdhsa_system_sgpr_workgroup_info 0
		.amdhsa_system_vgpr_workitem_id 0
		.amdhsa_next_free_vgpr 12
		.amdhsa_next_free_sgpr 22
		.amdhsa_reserve_vcc 1
		.amdhsa_reserve_flat_scratch 0
		.amdhsa_float_round_mode_32 0
		.amdhsa_float_round_mode_16_64 0
		.amdhsa_float_denorm_mode_32 3
		.amdhsa_float_denorm_mode_16_64 3
		.amdhsa_dx10_clamp 1
		.amdhsa_ieee_mode 1
		.amdhsa_fp16_overflow 0
		.amdhsa_workgroup_processor_mode 1
		.amdhsa_memory_ordered 1
		.amdhsa_forward_progress 1
		.amdhsa_shared_vgpr_count 0
		.amdhsa_exception_fp_ieee_invalid_op 0
		.amdhsa_exception_fp_denorm_src 0
		.amdhsa_exception_fp_ieee_div_zero 0
		.amdhsa_exception_fp_ieee_overflow 0
		.amdhsa_exception_fp_ieee_underflow 0
		.amdhsa_exception_fp_ieee_inexact 0
		.amdhsa_exception_int_div_zero 0
	.end_amdhsa_kernel
	.section	.text._ZL20rocblas_trmvt_kernelILi512ELb0ELb1ELb1EPKPKdPKPdS4_EviT3_lllT4_lllT5_li,"axG",@progbits,_ZL20rocblas_trmvt_kernelILi512ELb0ELb1ELb1EPKPKdPKPdS4_EviT3_lllT4_lllT5_li,comdat
.Lfunc_end62:
	.size	_ZL20rocblas_trmvt_kernelILi512ELb0ELb1ELb1EPKPKdPKPdS4_EviT3_lllT4_lllT5_li, .Lfunc_end62-_ZL20rocblas_trmvt_kernelILi512ELb0ELb1ELb1EPKPKdPKPdS4_EviT3_lllT4_lllT5_li
                                        ; -- End function
	.set _ZL20rocblas_trmvt_kernelILi512ELb0ELb1ELb1EPKPKdPKPdS4_EviT3_lllT4_lllT5_li.num_vgpr, 12
	.set _ZL20rocblas_trmvt_kernelILi512ELb0ELb1ELb1EPKPKdPKPdS4_EviT3_lllT4_lllT5_li.num_agpr, 0
	.set _ZL20rocblas_trmvt_kernelILi512ELb0ELb1ELb1EPKPKdPKPdS4_EviT3_lllT4_lllT5_li.numbered_sgpr, 22
	.set _ZL20rocblas_trmvt_kernelILi512ELb0ELb1ELb1EPKPKdPKPdS4_EviT3_lllT4_lllT5_li.num_named_barrier, 0
	.set _ZL20rocblas_trmvt_kernelILi512ELb0ELb1ELb1EPKPKdPKPdS4_EviT3_lllT4_lllT5_li.private_seg_size, 0
	.set _ZL20rocblas_trmvt_kernelILi512ELb0ELb1ELb1EPKPKdPKPdS4_EviT3_lllT4_lllT5_li.uses_vcc, 1
	.set _ZL20rocblas_trmvt_kernelILi512ELb0ELb1ELb1EPKPKdPKPdS4_EviT3_lllT4_lllT5_li.uses_flat_scratch, 0
	.set _ZL20rocblas_trmvt_kernelILi512ELb0ELb1ELb1EPKPKdPKPdS4_EviT3_lllT4_lllT5_li.has_dyn_sized_stack, 0
	.set _ZL20rocblas_trmvt_kernelILi512ELb0ELb1ELb1EPKPKdPKPdS4_EviT3_lllT4_lllT5_li.has_recursion, 0
	.set _ZL20rocblas_trmvt_kernelILi512ELb0ELb1ELb1EPKPKdPKPdS4_EviT3_lllT4_lllT5_li.has_indirect_call, 0
	.section	.AMDGPU.csdata,"",@progbits
; Kernel info:
; codeLenInByte = 1132
; TotalNumSgprs: 24
; NumVgprs: 12
; ScratchSize: 0
; MemoryBound: 1
; FloatMode: 240
; IeeeMode: 1
; LDSByteSize: 256 bytes/workgroup (compile time only)
; SGPRBlocks: 0
; VGPRBlocks: 1
; NumSGPRsForWavesPerEU: 24
; NumVGPRsForWavesPerEU: 12
; Occupancy: 16
; WaveLimiterHint : 1
; COMPUTE_PGM_RSRC2:SCRATCH_EN: 0
; COMPUTE_PGM_RSRC2:USER_SGPR: 6
; COMPUTE_PGM_RSRC2:TRAP_HANDLER: 0
; COMPUTE_PGM_RSRC2:TGID_X_EN: 1
; COMPUTE_PGM_RSRC2:TGID_Y_EN: 0
; COMPUTE_PGM_RSRC2:TGID_Z_EN: 1
; COMPUTE_PGM_RSRC2:TIDIG_COMP_CNT: 0
	.section	.text._ZL20rocblas_trmvn_kernelILi64ELi16ELb0ELb0EPKPKdPKPdS4_EviT3_lllT4_lllT5_li,"axG",@progbits,_ZL20rocblas_trmvn_kernelILi64ELi16ELb0ELb0EPKPKdPKPdS4_EviT3_lllT4_lllT5_li,comdat
	.globl	_ZL20rocblas_trmvn_kernelILi64ELi16ELb0ELb0EPKPKdPKPdS4_EviT3_lllT4_lllT5_li ; -- Begin function _ZL20rocblas_trmvn_kernelILi64ELi16ELb0ELb0EPKPKdPKPdS4_EviT3_lllT4_lllT5_li
	.p2align	8
	.type	_ZL20rocblas_trmvn_kernelILi64ELi16ELb0ELb0EPKPKdPKPdS4_EviT3_lllT4_lllT5_li,@function
_ZL20rocblas_trmvn_kernelILi64ELi16ELb0ELb0EPKPKdPKPdS4_EviT3_lllT4_lllT5_li: ; @_ZL20rocblas_trmvn_kernelILi64ELi16ELb0ELb0EPKPKdPKPdS4_EviT3_lllT4_lllT5_li
; %bb.0:
	s_clause 0x2
	s_load_dwordx4 s[0:3], s[4:5], 0x8
	s_load_dwordx4 s[8:11], s[4:5], 0x28
	s_load_dword s20, s[4:5], 0x0
	s_mov_b32 s12, s7
	s_mov_b32 s13, 0
	s_clause 0x1
	s_load_dwordx2 s[14:15], s[4:5], 0x18
	s_load_dwordx2 s[16:17], s[4:5], 0x38
	s_lshl_b64 s[18:19], s[12:13], 3
	v_lshl_add_u32 v2, s6, 6, v0
	v_mov_b32_e32 v4, 0
	v_mov_b32_e32 v5, 0
	s_waitcnt lgkmcnt(0)
	s_add_u32 s0, s0, s18
	s_addc_u32 s1, s1, s19
	s_add_u32 s18, s8, s18
	s_addc_u32 s19, s9, s19
	s_load_dwordx2 s[8:9], s[0:1], 0x0
	s_load_dwordx2 s[18:19], s[18:19], 0x0
	v_cmp_eq_u32_e64 s0, 0, v1
	v_cmp_gt_i32_e32 vcc_lo, s20, v2
	s_and_b32 s0, s0, vcc_lo
	s_and_saveexec_b32 s1, s0
	s_cbranch_execz .LBB63_2
; %bb.1:
	v_ashrrev_i32_e32 v3, 31, v2
	v_mul_lo_u32 v8, v2, s15
	v_mul_lo_u32 v10, s17, v2
	v_mad_u64_u32 v[6:7], null, s16, v2, 0
	v_mul_lo_u32 v9, v3, s14
	v_mad_u64_u32 v[4:5], null, v2, s14, v[2:3]
	v_mul_lo_u32 v3, s16, v3
	s_lshl_b64 s[6:7], s[2:3], 3
	s_waitcnt lgkmcnt(0)
	s_add_u32 s0, s8, s6
	s_addc_u32 s13, s9, s7
	s_lshl_b64 s[6:7], s[10:11], 3
	v_add3_u32 v5, v9, v5, v8
	s_add_u32 s6, s18, s6
	v_add3_u32 v7, v7, v3, v10
	s_addc_u32 s7, s19, s7
	v_lshlrev_b64 v[3:4], 3, v[4:5]
	v_lshlrev_b64 v[5:6], 3, v[6:7]
	v_add_co_u32 v3, s0, s0, v3
	v_add_co_ci_u32_e64 v4, null, s13, v4, s0
	v_add_co_u32 v5, s0, s6, v5
	v_add_co_ci_u32_e64 v6, null, s7, v6, s0
	flat_load_dwordx2 v[3:4], v[3:4]
	flat_load_dwordx2 v[5:6], v[5:6]
	s_waitcnt vmcnt(0) lgkmcnt(0)
	v_mul_f64 v[4:5], v[3:4], v[5:6]
.LBB63_2:
	s_or_b32 exec_lo, exec_lo, s1
	s_load_dword s13, s[4:5], 0x6c
	s_mov_b32 s21, exec_lo
	v_cmpx_gt_i32_e64 s20, v1
	s_cbranch_execz .LBB63_8
; %bb.3:
	v_mad_u64_u32 v[6:7], null, s14, v1, 0
	v_mad_u64_u32 v[8:9], null, s16, v1, 0
	s_lshl_b64 s[0:1], s[10:11], 3
	s_waitcnt lgkmcnt(0)
	s_add_u32 s6, s18, s0
	s_addc_u32 s7, s19, s1
	v_mov_b32_e32 v3, v7
	s_lshl_b64 s[0:1], s[2:3], 3
	s_lshl_b64 s[2:3], s[16:17], 7
	v_mad_u64_u32 v[10:11], null, s15, v1, v[3:4]
	v_mov_b32_e32 v3, v9
	v_mov_b32_e32 v7, v10
	v_mad_u64_u32 v[9:10], null, s17, v1, v[3:4]
	v_ashrrev_i32_e32 v3, 31, v2
	v_lshlrev_b64 v[6:7], 3, v[6:7]
	v_lshlrev_b64 v[10:11], 3, v[2:3]
	v_add_co_u32 v3, s0, v6, s0
	v_add_co_ci_u32_e64 v12, null, s1, v7, s0
	v_lshlrev_b64 v[6:7], 3, v[8:9]
	v_add_co_u32 v3, s0, v3, v10
	v_add_co_ci_u32_e64 v9, null, v12, v11, s0
	v_add_co_u32 v6, s0, s6, v6
	v_add_co_ci_u32_e64 v7, null, s7, v7, s0
	;; [unrolled: 2-line block ×3, first 2 shown]
	v_mov_b32_e32 v3, v1
	s_lshl_b64 s[6:7], s[14:15], 7
	s_mov_b32 s8, 0
	s_inst_prefetch 0x1
	s_branch .LBB63_5
	.p2align	6
.LBB63_4:                               ;   in Loop: Header=BB63_5 Depth=1
	s_or_b32 exec_lo, exec_lo, s1
	v_add_nc_u32_e32 v3, 16, v3
	v_add_co_u32 v6, s0, v6, s2
	v_add_co_ci_u32_e64 v7, null, s3, v7, s0
	v_cmp_le_i32_e64 s0, s20, v3
	v_add_co_u32 v8, s1, v8, s6
	v_add_co_ci_u32_e64 v9, null, s7, v9, s1
	s_or_b32 s8, s0, s8
	s_andn2_b32 exec_lo, exec_lo, s8
	s_cbranch_execz .LBB63_7
.LBB63_5:                               ; =>This Inner Loop Header: Depth=1
	s_mov_b32 s1, exec_lo
	v_cmpx_gt_i32_e64 v3, v2
	s_cbranch_execz .LBB63_4
; %bb.6:                                ;   in Loop: Header=BB63_5 Depth=1
	flat_load_dwordx2 v[10:11], v[8:9]
	flat_load_dwordx2 v[12:13], v[6:7]
	s_waitcnt vmcnt(0) lgkmcnt(0)
	v_fma_f64 v[4:5], v[10:11], v[12:13], v[4:5]
	s_branch .LBB63_4
.LBB63_7:
	s_inst_prefetch 0x2
	s_or_b32 exec_lo, exec_lo, s8
.LBB63_8:
	s_or_b32 exec_lo, exec_lo, s21
	v_lshlrev_b32_e32 v3, 3, v0
	s_waitcnt lgkmcnt(0)
	s_and_b32 s1, 0xffff, s13
	s_mov_b32 s2, exec_lo
	v_mad_u32_u24 v0, v1, s1, v0
	v_lshl_add_u32 v6, v1, 9, v3
	ds_write_b64 v6, v[4:5]
	s_waitcnt lgkmcnt(0)
	s_barrier
	buffer_gl0_inv
	v_cmpx_gt_u32_e32 64, v0
	s_cbranch_execz .LBB63_11
; %bb.9:
	v_mul_u32_u24_e32 v0, s1, v1
	v_lshl_add_u32 v11, v0, 3, v3
	ds_read2st64_b64 v[3:6], v11 offset1:1
	ds_read2st64_b64 v[7:10], v11 offset0:2 offset1:3
	s_waitcnt lgkmcnt(1)
	v_add_f64 v[0:1], v[3:4], v[5:6]
	s_waitcnt lgkmcnt(0)
	v_add_f64 v[0:1], v[7:8], v[0:1]
	v_add_f64 v[0:1], v[9:10], v[0:1]
	ds_read2st64_b64 v[3:6], v11 offset0:4 offset1:5
	ds_read2st64_b64 v[7:10], v11 offset0:6 offset1:7
	s_waitcnt lgkmcnt(1)
	v_add_f64 v[0:1], v[3:4], v[0:1]
	v_add_f64 v[0:1], v[5:6], v[0:1]
	s_waitcnt lgkmcnt(0)
	v_add_f64 v[0:1], v[7:8], v[0:1]
	v_add_f64 v[0:1], v[9:10], v[0:1]
	ds_read2st64_b64 v[3:6], v11 offset0:8 offset1:9
	ds_read2st64_b64 v[7:10], v11 offset0:10 offset1:11
	s_waitcnt lgkmcnt(1)
	v_add_f64 v[0:1], v[3:4], v[0:1]
	;; [unrolled: 8-line block ×3, first 2 shown]
	v_add_f64 v[0:1], v[5:6], v[0:1]
	s_waitcnt lgkmcnt(0)
	v_add_f64 v[0:1], v[7:8], v[0:1]
	v_add_f64 v[0:1], v[9:10], v[0:1]
	ds_write_b64 v11, v[0:1]
	s_and_b32 exec_lo, exec_lo, vcc_lo
	s_cbranch_execz .LBB63_11
; %bb.10:
	s_load_dwordx4 s[0:3], s[4:5], 0x48
	v_ashrrev_i32_e32 v3, 31, v2
	v_lshlrev_b64 v[2:3], 3, v[2:3]
	s_waitcnt lgkmcnt(0)
	s_mul_i32 s3, s3, s12
	s_mul_hi_u32 s4, s2, s12
	s_mul_i32 s2, s2, s12
	s_add_i32 s3, s4, s3
	s_lshl_b64 s[2:3], s[2:3], 3
	s_add_u32 s0, s0, s2
	s_addc_u32 s1, s1, s3
	v_add_co_u32 v2, vcc_lo, s0, v2
	v_add_co_ci_u32_e64 v3, null, s1, v3, vcc_lo
	global_store_dwordx2 v[2:3], v[0:1], off
.LBB63_11:
	s_endpgm
	.section	.rodata,"a",@progbits
	.p2align	6, 0x0
	.amdhsa_kernel _ZL20rocblas_trmvn_kernelILi64ELi16ELb0ELb0EPKPKdPKPdS4_EviT3_lllT4_lllT5_li
		.amdhsa_group_segment_fixed_size 8192
		.amdhsa_private_segment_fixed_size 0
		.amdhsa_kernarg_size 352
		.amdhsa_user_sgpr_count 6
		.amdhsa_user_sgpr_private_segment_buffer 1
		.amdhsa_user_sgpr_dispatch_ptr 0
		.amdhsa_user_sgpr_queue_ptr 0
		.amdhsa_user_sgpr_kernarg_segment_ptr 1
		.amdhsa_user_sgpr_dispatch_id 0
		.amdhsa_user_sgpr_flat_scratch_init 0
		.amdhsa_user_sgpr_private_segment_size 0
		.amdhsa_wavefront_size32 1
		.amdhsa_uses_dynamic_stack 0
		.amdhsa_system_sgpr_private_segment_wavefront_offset 0
		.amdhsa_system_sgpr_workgroup_id_x 1
		.amdhsa_system_sgpr_workgroup_id_y 0
		.amdhsa_system_sgpr_workgroup_id_z 1
		.amdhsa_system_sgpr_workgroup_info 0
		.amdhsa_system_vgpr_workitem_id 1
		.amdhsa_next_free_vgpr 14
		.amdhsa_next_free_sgpr 22
		.amdhsa_reserve_vcc 1
		.amdhsa_reserve_flat_scratch 0
		.amdhsa_float_round_mode_32 0
		.amdhsa_float_round_mode_16_64 0
		.amdhsa_float_denorm_mode_32 3
		.amdhsa_float_denorm_mode_16_64 3
		.amdhsa_dx10_clamp 1
		.amdhsa_ieee_mode 1
		.amdhsa_fp16_overflow 0
		.amdhsa_workgroup_processor_mode 1
		.amdhsa_memory_ordered 1
		.amdhsa_forward_progress 1
		.amdhsa_shared_vgpr_count 0
		.amdhsa_exception_fp_ieee_invalid_op 0
		.amdhsa_exception_fp_denorm_src 0
		.amdhsa_exception_fp_ieee_div_zero 0
		.amdhsa_exception_fp_ieee_overflow 0
		.amdhsa_exception_fp_ieee_underflow 0
		.amdhsa_exception_fp_ieee_inexact 0
		.amdhsa_exception_int_div_zero 0
	.end_amdhsa_kernel
	.section	.text._ZL20rocblas_trmvn_kernelILi64ELi16ELb0ELb0EPKPKdPKPdS4_EviT3_lllT4_lllT5_li,"axG",@progbits,_ZL20rocblas_trmvn_kernelILi64ELi16ELb0ELb0EPKPKdPKPdS4_EviT3_lllT4_lllT5_li,comdat
.Lfunc_end63:
	.size	_ZL20rocblas_trmvn_kernelILi64ELi16ELb0ELb0EPKPKdPKPdS4_EviT3_lllT4_lllT5_li, .Lfunc_end63-_ZL20rocblas_trmvn_kernelILi64ELi16ELb0ELb0EPKPKdPKPdS4_EviT3_lllT4_lllT5_li
                                        ; -- End function
	.set _ZL20rocblas_trmvn_kernelILi64ELi16ELb0ELb0EPKPKdPKPdS4_EviT3_lllT4_lllT5_li.num_vgpr, 14
	.set _ZL20rocblas_trmvn_kernelILi64ELi16ELb0ELb0EPKPKdPKPdS4_EviT3_lllT4_lllT5_li.num_agpr, 0
	.set _ZL20rocblas_trmvn_kernelILi64ELi16ELb0ELb0EPKPKdPKPdS4_EviT3_lllT4_lllT5_li.numbered_sgpr, 22
	.set _ZL20rocblas_trmvn_kernelILi64ELi16ELb0ELb0EPKPKdPKPdS4_EviT3_lllT4_lllT5_li.num_named_barrier, 0
	.set _ZL20rocblas_trmvn_kernelILi64ELi16ELb0ELb0EPKPKdPKPdS4_EviT3_lllT4_lllT5_li.private_seg_size, 0
	.set _ZL20rocblas_trmvn_kernelILi64ELi16ELb0ELb0EPKPKdPKPdS4_EviT3_lllT4_lllT5_li.uses_vcc, 1
	.set _ZL20rocblas_trmvn_kernelILi64ELi16ELb0ELb0EPKPKdPKPdS4_EviT3_lllT4_lllT5_li.uses_flat_scratch, 0
	.set _ZL20rocblas_trmvn_kernelILi64ELi16ELb0ELb0EPKPKdPKPdS4_EviT3_lllT4_lllT5_li.has_dyn_sized_stack, 0
	.set _ZL20rocblas_trmvn_kernelILi64ELi16ELb0ELb0EPKPKdPKPdS4_EviT3_lllT4_lllT5_li.has_recursion, 0
	.set _ZL20rocblas_trmvn_kernelILi64ELi16ELb0ELb0EPKPKdPKPdS4_EviT3_lllT4_lllT5_li.has_indirect_call, 0
	.section	.AMDGPU.csdata,"",@progbits
; Kernel info:
; codeLenInByte = 1088
; TotalNumSgprs: 24
; NumVgprs: 14
; ScratchSize: 0
; MemoryBound: 1
; FloatMode: 240
; IeeeMode: 1
; LDSByteSize: 8192 bytes/workgroup (compile time only)
; SGPRBlocks: 0
; VGPRBlocks: 1
; NumSGPRsForWavesPerEU: 24
; NumVGPRsForWavesPerEU: 14
; Occupancy: 16
; WaveLimiterHint : 1
; COMPUTE_PGM_RSRC2:SCRATCH_EN: 0
; COMPUTE_PGM_RSRC2:USER_SGPR: 6
; COMPUTE_PGM_RSRC2:TRAP_HANDLER: 0
; COMPUTE_PGM_RSRC2:TGID_X_EN: 1
; COMPUTE_PGM_RSRC2:TGID_Y_EN: 0
; COMPUTE_PGM_RSRC2:TGID_Z_EN: 1
; COMPUTE_PGM_RSRC2:TIDIG_COMP_CNT: 1
	.section	.text._ZL20rocblas_trmvt_kernelILi512ELb0ELb0ELb0EPKPKdPKPdS4_EviT3_lllT4_lllT5_li,"axG",@progbits,_ZL20rocblas_trmvt_kernelILi512ELb0ELb0ELb0EPKPKdPKPdS4_EviT3_lllT4_lllT5_li,comdat
	.globl	_ZL20rocblas_trmvt_kernelILi512ELb0ELb0ELb0EPKPKdPKPdS4_EviT3_lllT4_lllT5_li ; -- Begin function _ZL20rocblas_trmvt_kernelILi512ELb0ELb0ELb0EPKPKdPKPdS4_EviT3_lllT4_lllT5_li
	.p2align	8
	.type	_ZL20rocblas_trmvt_kernelILi512ELb0ELb0ELb0EPKPKdPKPdS4_EviT3_lllT4_lllT5_li,@function
_ZL20rocblas_trmvt_kernelILi512ELb0ELb0ELb0EPKPKdPKPdS4_EviT3_lllT4_lllT5_li: ; @_ZL20rocblas_trmvt_kernelILi512ELb0ELb0ELb0EPKPKdPKPdS4_EviT3_lllT4_lllT5_li
; %bb.0:
	s_clause 0x1
	s_load_dwordx4 s[16:19], s[4:5], 0x8
	s_load_dword s14, s[4:5], 0x0
	s_mov_b32 s2, s7
	s_mov_b32 s3, 0
	s_load_dwordx2 s[22:23], s[4:5], 0x18
	s_lshl_b64 s[20:21], s[2:3], 3
	v_mov_b32_e32 v3, 0
	v_mov_b32_e32 v4, 0
	s_waitcnt lgkmcnt(0)
	s_add_u32 s0, s16, s20
	s_addc_u32 s1, s17, s21
	s_lshl_b64 s[18:19], s[18:19], 3
	s_load_dwordx2 s[16:17], s[0:1], 0x0
	s_clause 0x1
	s_load_dwordx4 s[8:11], s[4:5], 0x28
	s_load_dwordx2 s[12:13], s[4:5], 0x38
	v_cmp_gt_i32_e64 s0, s14, v0
	s_mul_hi_u32 s1, s22, s6
	s_mul_i32 s3, s23, s6
	v_cndmask_b32_e64 v1, 0, v0, s0
	v_lshlrev_b32_e32 v1, 3, v1
	s_waitcnt lgkmcnt(0)
	s_add_u32 s15, s16, s18
	s_addc_u32 s18, s17, s19
	s_add_u32 s8, s8, s20
	s_addc_u32 s9, s9, s21
	s_ashr_i32 s7, s6, 31
	s_load_dwordx2 s[8:9], s[8:9], 0x0
	s_mul_i32 s16, s22, s7
	s_add_i32 s1, s1, s16
	s_mul_i32 s16, s22, s6
	s_add_i32 s17, s1, s3
	v_add_co_u32 v1, s1, s15, v1
	v_add_co_ci_u32_e64 v2, null, s18, 0, s1
	s_lshl_b64 s[16:17], s[16:17], 3
	v_add_co_u32 v1, vcc_lo, v1, s16
	v_add_co_ci_u32_e64 v2, null, s17, v2, vcc_lo
	v_cmp_eq_u32_e32 vcc_lo, 0, v0
	s_and_saveexec_b32 s3, vcc_lo
	s_cbranch_execz .LBB64_2
; %bb.1:
	s_lshl_b64 s[16:17], s[10:11], 3
	s_mul_i32 s1, s12, s7
	s_waitcnt lgkmcnt(0)
	s_add_u32 s15, s8, s16
	s_mul_hi_u32 s16, s12, s6
	s_addc_u32 s20, s9, s17
	s_add_i32 s1, s16, s1
	s_mul_i32 s16, s13, s6
	s_lshl_b64 s[18:19], s[6:7], 3
	s_add_i32 s17, s1, s16
	s_mul_i32 s16, s12, s6
	v_add_co_u32 v3, s1, v1, s18
	s_lshl_b64 s[16:17], s[16:17], 3
	v_add_co_ci_u32_e64 v4, null, s19, v2, s1
	s_add_u32 s16, s15, s16
	s_addc_u32 s17, s20, s17
	v_mov_b32_e32 v5, s16
	v_mov_b32_e32 v6, s17
	flat_load_dwordx2 v[3:4], v[3:4]
	flat_load_dwordx2 v[5:6], v[5:6]
	s_waitcnt vmcnt(0) lgkmcnt(0)
	v_fma_f64 v[3:4], v[3:4], v[5:6], 0
.LBB64_2:
	s_or_b32 exec_lo, exec_lo, s3
	s_and_saveexec_b32 s3, s0
	s_cbranch_execz .LBB64_8
; %bb.3:
	v_mad_u64_u32 v[5:6], null, s12, v0, 0
	s_lshl_b64 s[0:1], s[10:11], 3
	s_mov_b32 s10, 0
	s_waitcnt lgkmcnt(0)
	s_add_u32 s0, s8, s0
	s_addc_u32 s1, s9, s1
	s_lshl_b64 s[8:9], s[12:13], 12
	v_mad_u64_u32 v[6:7], null, s13, v0, v[6:7]
	v_mov_b32_e32 v7, v0
	v_lshlrev_b64 v[5:6], 3, v[5:6]
	v_add_co_u32 v5, s0, s0, v5
	v_add_co_ci_u32_e64 v6, null, s1, v6, s0
	s_inst_prefetch 0x1
	s_branch .LBB64_5
	.p2align	6
.LBB64_4:                               ;   in Loop: Header=BB64_5 Depth=1
	s_or_b32 exec_lo, exec_lo, s1
	v_add_nc_u32_e32 v7, 0x200, v7
	v_add_co_u32 v1, s0, 0x1000, v1
	v_add_co_ci_u32_e64 v2, null, 0, v2, s0
	v_cmp_le_i32_e64 s0, s14, v7
	v_add_co_u32 v5, s1, v5, s8
	v_add_co_ci_u32_e64 v6, null, s9, v6, s1
	s_or_b32 s10, s0, s10
	s_andn2_b32 exec_lo, exec_lo, s10
	s_cbranch_execz .LBB64_7
.LBB64_5:                               ; =>This Inner Loop Header: Depth=1
	s_mov_b32 s1, exec_lo
	v_cmpx_gt_i32_e64 s6, v7
	s_cbranch_execz .LBB64_4
; %bb.6:                                ;   in Loop: Header=BB64_5 Depth=1
	flat_load_dwordx2 v[8:9], v[1:2]
	flat_load_dwordx2 v[10:11], v[5:6]
	s_waitcnt vmcnt(0) lgkmcnt(0)
	v_fma_f64 v[3:4], v[8:9], v[10:11], v[3:4]
	s_branch .LBB64_4
.LBB64_7:
	s_inst_prefetch 0x2
	s_or_b32 exec_lo, exec_lo, s10
.LBB64_8:
	s_or_b32 exec_lo, exec_lo, s3
	v_and_b32_e32 v10, 31, v0
	v_cmp_gt_u32_e64 s0, 32, v0
	v_lshlrev_b32_e32 v5, 3, v10
	s_and_saveexec_b32 s1, s0
; %bb.9:
	v_mov_b32_e32 v1, 0
	v_mov_b32_e32 v2, v1
	ds_write_b64 v5, v[1:2]
; %bb.10:
	s_or_b32 exec_lo, exec_lo, s1
	v_mbcnt_lo_u32_b32 v9, -1, 0
	s_mov_b32 s3, exec_lo
	s_waitcnt lgkmcnt(0)
	s_barrier
	buffer_gl0_inv
	v_lshl_or_b32 v2, v9, 2, 64
	v_cmp_gt_u32_e64 s1, 24, v9
	ds_bpermute_b32 v1, v2, v3
	ds_bpermute_b32 v2, v2, v4
	s_waitcnt lgkmcnt(0)
	v_add_f64 v[1:2], v[3:4], v[1:2]
	v_cndmask_b32_e64 v3, 0, 8, s1
	v_cmp_gt_u32_e64 s1, 28, v9
	v_add_lshl_u32 v6, v3, v9, 2
	ds_bpermute_b32 v3, v6, v1
	ds_bpermute_b32 v4, v6, v2
	s_waitcnt lgkmcnt(0)
	v_add_f64 v[1:2], v[1:2], v[3:4]
	v_cndmask_b32_e64 v3, 0, 4, s1
	v_cmp_gt_u32_e64 s1, 30, v9
	v_add_lshl_u32 v7, v3, v9, 2
	ds_bpermute_b32 v3, v7, v1
	ds_bpermute_b32 v4, v7, v2
	s_waitcnt lgkmcnt(0)
	v_add_f64 v[1:2], v[1:2], v[3:4]
	v_cndmask_b32_e64 v3, 0, 2, s1
	v_cmp_ne_u32_e64 s1, 31, v9
	v_add_lshl_u32 v8, v3, v9, 2
	ds_bpermute_b32 v3, v8, v1
	ds_bpermute_b32 v4, v8, v2
	s_waitcnt lgkmcnt(0)
	v_add_f64 v[1:2], v[1:2], v[3:4]
	v_add_co_ci_u32_e64 v3, null, 0, v9, s1
	v_lshlrev_b32_e32 v9, 2, v3
	ds_bpermute_b32 v3, v9, v1
	ds_bpermute_b32 v4, v9, v2
	v_cmpx_eq_u32_e32 0, v10
	s_cbranch_execz .LBB64_12
; %bb.11:
	s_waitcnt lgkmcnt(0)
	v_add_f64 v[1:2], v[1:2], v[3:4]
	v_lshrrev_b32_e32 v3, 2, v0
	v_and_b32_e32 v3, 0x78, v3
	ds_write_b64 v3, v[1:2]
.LBB64_12:
	s_or_b32 exec_lo, exec_lo, s3
	v_mov_b32_e32 v1, 0
	v_mov_b32_e32 v2, 0
	s_mov_b32 s3, exec_lo
	s_waitcnt lgkmcnt(0)
	s_barrier
	buffer_gl0_inv
	v_cmpx_gt_u32_e32 16, v0
	s_cbranch_execnz .LBB64_16
; %bb.13:
	s_or_b32 exec_lo, exec_lo, s3
	s_and_saveexec_b32 s1, s0
	s_cbranch_execnz .LBB64_17
.LBB64_14:
	s_or_b32 exec_lo, exec_lo, s1
	s_and_saveexec_b32 s0, vcc_lo
	s_cbranch_execnz .LBB64_18
.LBB64_15:
	s_endpgm
.LBB64_16:
	ds_read_b64 v[1:2], v5
	s_or_b32 exec_lo, exec_lo, s3
	s_and_saveexec_b32 s1, s0
	s_cbranch_execz .LBB64_14
.LBB64_17:
	s_waitcnt lgkmcnt(0)
	ds_bpermute_b32 v3, v6, v1
	ds_bpermute_b32 v4, v6, v2
	s_waitcnt lgkmcnt(0)
	v_add_f64 v[0:1], v[1:2], v[3:4]
	ds_bpermute_b32 v2, v7, v0
	ds_bpermute_b32 v3, v7, v1
	s_waitcnt lgkmcnt(0)
	v_add_f64 v[0:1], v[0:1], v[2:3]
	;; [unrolled: 4-line block ×4, first 2 shown]
	s_or_b32 exec_lo, exec_lo, s1
	s_and_saveexec_b32 s0, vcc_lo
	s_cbranch_execz .LBB64_15
.LBB64_18:
	s_load_dwordx4 s[8:11], s[4:5], 0x48
	v_mov_b32_e32 v0, 0
	s_waitcnt lgkmcnt(0)
	s_mul_i32 s1, s11, s2
	s_mul_hi_u32 s3, s10, s2
	s_mul_i32 s0, s10, s2
	s_add_i32 s1, s3, s1
	s_lshl_b64 s[0:1], s[0:1], 3
	s_add_u32 s2, s8, s0
	s_addc_u32 s3, s9, s1
	s_lshl_b64 s[0:1], s[6:7], 3
	s_add_u32 s0, s2, s0
	s_addc_u32 s1, s3, s1
	global_store_dwordx2 v0, v[1:2], s[0:1]
	s_endpgm
	.section	.rodata,"a",@progbits
	.p2align	6, 0x0
	.amdhsa_kernel _ZL20rocblas_trmvt_kernelILi512ELb0ELb0ELb0EPKPKdPKPdS4_EviT3_lllT4_lllT5_li
		.amdhsa_group_segment_fixed_size 256
		.amdhsa_private_segment_fixed_size 0
		.amdhsa_kernarg_size 92
		.amdhsa_user_sgpr_count 6
		.amdhsa_user_sgpr_private_segment_buffer 1
		.amdhsa_user_sgpr_dispatch_ptr 0
		.amdhsa_user_sgpr_queue_ptr 0
		.amdhsa_user_sgpr_kernarg_segment_ptr 1
		.amdhsa_user_sgpr_dispatch_id 0
		.amdhsa_user_sgpr_flat_scratch_init 0
		.amdhsa_user_sgpr_private_segment_size 0
		.amdhsa_wavefront_size32 1
		.amdhsa_uses_dynamic_stack 0
		.amdhsa_system_sgpr_private_segment_wavefront_offset 0
		.amdhsa_system_sgpr_workgroup_id_x 1
		.amdhsa_system_sgpr_workgroup_id_y 0
		.amdhsa_system_sgpr_workgroup_id_z 1
		.amdhsa_system_sgpr_workgroup_info 0
		.amdhsa_system_vgpr_workitem_id 0
		.amdhsa_next_free_vgpr 12
		.amdhsa_next_free_sgpr 24
		.amdhsa_reserve_vcc 1
		.amdhsa_reserve_flat_scratch 0
		.amdhsa_float_round_mode_32 0
		.amdhsa_float_round_mode_16_64 0
		.amdhsa_float_denorm_mode_32 3
		.amdhsa_float_denorm_mode_16_64 3
		.amdhsa_dx10_clamp 1
		.amdhsa_ieee_mode 1
		.amdhsa_fp16_overflow 0
		.amdhsa_workgroup_processor_mode 1
		.amdhsa_memory_ordered 1
		.amdhsa_forward_progress 1
		.amdhsa_shared_vgpr_count 0
		.amdhsa_exception_fp_ieee_invalid_op 0
		.amdhsa_exception_fp_denorm_src 0
		.amdhsa_exception_fp_ieee_div_zero 0
		.amdhsa_exception_fp_ieee_overflow 0
		.amdhsa_exception_fp_ieee_underflow 0
		.amdhsa_exception_fp_ieee_inexact 0
		.amdhsa_exception_int_div_zero 0
	.end_amdhsa_kernel
	.section	.text._ZL20rocblas_trmvt_kernelILi512ELb0ELb0ELb0EPKPKdPKPdS4_EviT3_lllT4_lllT5_li,"axG",@progbits,_ZL20rocblas_trmvt_kernelILi512ELb0ELb0ELb0EPKPKdPKPdS4_EviT3_lllT4_lllT5_li,comdat
.Lfunc_end64:
	.size	_ZL20rocblas_trmvt_kernelILi512ELb0ELb0ELb0EPKPKdPKPdS4_EviT3_lllT4_lllT5_li, .Lfunc_end64-_ZL20rocblas_trmvt_kernelILi512ELb0ELb0ELb0EPKPKdPKPdS4_EviT3_lllT4_lllT5_li
                                        ; -- End function
	.set _ZL20rocblas_trmvt_kernelILi512ELb0ELb0ELb0EPKPKdPKPdS4_EviT3_lllT4_lllT5_li.num_vgpr, 12
	.set _ZL20rocblas_trmvt_kernelILi512ELb0ELb0ELb0EPKPKdPKPdS4_EviT3_lllT4_lllT5_li.num_agpr, 0
	.set _ZL20rocblas_trmvt_kernelILi512ELb0ELb0ELb0EPKPKdPKPdS4_EviT3_lllT4_lllT5_li.numbered_sgpr, 24
	.set _ZL20rocblas_trmvt_kernelILi512ELb0ELb0ELb0EPKPKdPKPdS4_EviT3_lllT4_lllT5_li.num_named_barrier, 0
	.set _ZL20rocblas_trmvt_kernelILi512ELb0ELb0ELb0EPKPKdPKPdS4_EviT3_lllT4_lllT5_li.private_seg_size, 0
	.set _ZL20rocblas_trmvt_kernelILi512ELb0ELb0ELb0EPKPKdPKPdS4_EviT3_lllT4_lllT5_li.uses_vcc, 1
	.set _ZL20rocblas_trmvt_kernelILi512ELb0ELb0ELb0EPKPKdPKPdS4_EviT3_lllT4_lllT5_li.uses_flat_scratch, 0
	.set _ZL20rocblas_trmvt_kernelILi512ELb0ELb0ELb0EPKPKdPKPdS4_EviT3_lllT4_lllT5_li.has_dyn_sized_stack, 0
	.set _ZL20rocblas_trmvt_kernelILi512ELb0ELb0ELb0EPKPKdPKPdS4_EviT3_lllT4_lllT5_li.has_recursion, 0
	.set _ZL20rocblas_trmvt_kernelILi512ELb0ELb0ELb0EPKPKdPKPdS4_EviT3_lllT4_lllT5_li.has_indirect_call, 0
	.section	.AMDGPU.csdata,"",@progbits
; Kernel info:
; codeLenInByte = 1196
; TotalNumSgprs: 26
; NumVgprs: 12
; ScratchSize: 0
; MemoryBound: 1
; FloatMode: 240
; IeeeMode: 1
; LDSByteSize: 256 bytes/workgroup (compile time only)
; SGPRBlocks: 0
; VGPRBlocks: 1
; NumSGPRsForWavesPerEU: 26
; NumVGPRsForWavesPerEU: 12
; Occupancy: 16
; WaveLimiterHint : 1
; COMPUTE_PGM_RSRC2:SCRATCH_EN: 0
; COMPUTE_PGM_RSRC2:USER_SGPR: 6
; COMPUTE_PGM_RSRC2:TRAP_HANDLER: 0
; COMPUTE_PGM_RSRC2:TGID_X_EN: 1
; COMPUTE_PGM_RSRC2:TGID_Y_EN: 0
; COMPUTE_PGM_RSRC2:TGID_Z_EN: 1
; COMPUTE_PGM_RSRC2:TIDIG_COMP_CNT: 0
	.section	.text._ZL20rocblas_trmvt_kernelILi512ELb0ELb1ELb0EPKPKdPKPdS4_EviT3_lllT4_lllT5_li,"axG",@progbits,_ZL20rocblas_trmvt_kernelILi512ELb0ELb1ELb0EPKPKdPKPdS4_EviT3_lllT4_lllT5_li,comdat
	.globl	_ZL20rocblas_trmvt_kernelILi512ELb0ELb1ELb0EPKPKdPKPdS4_EviT3_lllT4_lllT5_li ; -- Begin function _ZL20rocblas_trmvt_kernelILi512ELb0ELb1ELb0EPKPKdPKPdS4_EviT3_lllT4_lllT5_li
	.p2align	8
	.type	_ZL20rocblas_trmvt_kernelILi512ELb0ELb1ELb0EPKPKdPKPdS4_EviT3_lllT4_lllT5_li,@function
_ZL20rocblas_trmvt_kernelILi512ELb0ELb1ELb0EPKPKdPKPdS4_EviT3_lllT4_lllT5_li: ; @_ZL20rocblas_trmvt_kernelILi512ELb0ELb1ELb0EPKPKdPKPdS4_EviT3_lllT4_lllT5_li
; %bb.0:
	s_clause 0x1
	s_load_dwordx4 s[16:19], s[4:5], 0x8
	s_load_dword s14, s[4:5], 0x0
	s_mov_b32 s2, s7
	s_mov_b32 s3, 0
	s_load_dwordx2 s[22:23], s[4:5], 0x18
	s_lshl_b64 s[20:21], s[2:3], 3
	v_mov_b32_e32 v3, 0
	v_mov_b32_e32 v4, 0
	s_waitcnt lgkmcnt(0)
	s_add_u32 s0, s16, s20
	s_addc_u32 s1, s17, s21
	s_lshl_b64 s[18:19], s[18:19], 3
	s_load_dwordx2 s[16:17], s[0:1], 0x0
	s_clause 0x1
	s_load_dwordx4 s[8:11], s[4:5], 0x28
	s_load_dwordx2 s[12:13], s[4:5], 0x38
	v_cmp_gt_i32_e64 s0, s14, v0
	s_mul_hi_u32 s1, s22, s6
	s_mul_i32 s3, s23, s6
	v_cndmask_b32_e64 v1, 0, v0, s0
	v_lshlrev_b32_e32 v1, 3, v1
	s_waitcnt lgkmcnt(0)
	s_add_u32 s15, s16, s18
	s_addc_u32 s18, s17, s19
	s_add_u32 s8, s8, s20
	s_addc_u32 s9, s9, s21
	s_ashr_i32 s7, s6, 31
	s_load_dwordx2 s[8:9], s[8:9], 0x0
	s_mul_i32 s16, s22, s7
	s_add_i32 s1, s1, s16
	s_mul_i32 s16, s22, s6
	s_add_i32 s17, s1, s3
	v_add_co_u32 v1, s1, s15, v1
	v_add_co_ci_u32_e64 v2, null, s18, 0, s1
	s_lshl_b64 s[16:17], s[16:17], 3
	v_add_co_u32 v1, vcc_lo, v1, s16
	v_add_co_ci_u32_e64 v2, null, s17, v2, vcc_lo
	v_cmp_eq_u32_e32 vcc_lo, 0, v0
	s_and_saveexec_b32 s3, vcc_lo
	s_cbranch_execz .LBB65_2
; %bb.1:
	s_lshl_b64 s[16:17], s[10:11], 3
	s_mul_i32 s1, s12, s7
	s_waitcnt lgkmcnt(0)
	s_add_u32 s15, s8, s16
	s_mul_hi_u32 s16, s12, s6
	s_addc_u32 s20, s9, s17
	s_add_i32 s1, s16, s1
	s_mul_i32 s16, s13, s6
	s_lshl_b64 s[18:19], s[6:7], 3
	s_add_i32 s17, s1, s16
	s_mul_i32 s16, s12, s6
	v_add_co_u32 v3, s1, v1, s18
	s_lshl_b64 s[16:17], s[16:17], 3
	v_add_co_ci_u32_e64 v4, null, s19, v2, s1
	s_add_u32 s16, s15, s16
	s_addc_u32 s17, s20, s17
	v_mov_b32_e32 v5, s16
	v_mov_b32_e32 v6, s17
	flat_load_dwordx2 v[3:4], v[3:4]
	flat_load_dwordx2 v[5:6], v[5:6]
	s_waitcnt vmcnt(0) lgkmcnt(0)
	v_fma_f64 v[3:4], v[3:4], v[5:6], 0
.LBB65_2:
	s_or_b32 exec_lo, exec_lo, s3
	s_and_saveexec_b32 s3, s0
	s_cbranch_execz .LBB65_8
; %bb.3:
	v_mad_u64_u32 v[5:6], null, s12, v0, 0
	s_lshl_b64 s[0:1], s[10:11], 3
	s_mov_b32 s10, 0
	s_waitcnt lgkmcnt(0)
	s_add_u32 s0, s8, s0
	s_addc_u32 s1, s9, s1
	s_lshl_b64 s[8:9], s[12:13], 12
	v_mad_u64_u32 v[6:7], null, s13, v0, v[6:7]
	v_mov_b32_e32 v7, v0
	v_lshlrev_b64 v[5:6], 3, v[5:6]
	v_add_co_u32 v5, s0, s0, v5
	v_add_co_ci_u32_e64 v6, null, s1, v6, s0
	s_inst_prefetch 0x1
	s_branch .LBB65_5
	.p2align	6
.LBB65_4:                               ;   in Loop: Header=BB65_5 Depth=1
	s_or_b32 exec_lo, exec_lo, s1
	v_add_nc_u32_e32 v7, 0x200, v7
	v_add_co_u32 v1, s0, 0x1000, v1
	v_add_co_ci_u32_e64 v2, null, 0, v2, s0
	v_cmp_le_i32_e64 s0, s14, v7
	v_add_co_u32 v5, s1, v5, s8
	v_add_co_ci_u32_e64 v6, null, s9, v6, s1
	s_or_b32 s10, s0, s10
	s_andn2_b32 exec_lo, exec_lo, s10
	s_cbranch_execz .LBB65_7
.LBB65_5:                               ; =>This Inner Loop Header: Depth=1
	s_mov_b32 s1, exec_lo
	v_cmpx_gt_i32_e64 s6, v7
	s_cbranch_execz .LBB65_4
; %bb.6:                                ;   in Loop: Header=BB65_5 Depth=1
	flat_load_dwordx2 v[8:9], v[1:2]
	flat_load_dwordx2 v[10:11], v[5:6]
	s_waitcnt vmcnt(0) lgkmcnt(0)
	v_fma_f64 v[3:4], v[8:9], v[10:11], v[3:4]
	s_branch .LBB65_4
.LBB65_7:
	s_inst_prefetch 0x2
	s_or_b32 exec_lo, exec_lo, s10
.LBB65_8:
	s_or_b32 exec_lo, exec_lo, s3
	v_and_b32_e32 v10, 31, v0
	v_cmp_gt_u32_e64 s0, 32, v0
	v_lshlrev_b32_e32 v5, 3, v10
	s_and_saveexec_b32 s1, s0
; %bb.9:
	v_mov_b32_e32 v1, 0
	v_mov_b32_e32 v2, v1
	ds_write_b64 v5, v[1:2]
; %bb.10:
	s_or_b32 exec_lo, exec_lo, s1
	v_mbcnt_lo_u32_b32 v9, -1, 0
	s_mov_b32 s3, exec_lo
	s_waitcnt lgkmcnt(0)
	s_barrier
	buffer_gl0_inv
	v_lshl_or_b32 v2, v9, 2, 64
	v_cmp_gt_u32_e64 s1, 24, v9
	ds_bpermute_b32 v1, v2, v3
	ds_bpermute_b32 v2, v2, v4
	s_waitcnt lgkmcnt(0)
	v_add_f64 v[1:2], v[3:4], v[1:2]
	v_cndmask_b32_e64 v3, 0, 8, s1
	v_cmp_gt_u32_e64 s1, 28, v9
	v_add_lshl_u32 v6, v3, v9, 2
	ds_bpermute_b32 v3, v6, v1
	ds_bpermute_b32 v4, v6, v2
	s_waitcnt lgkmcnt(0)
	v_add_f64 v[1:2], v[1:2], v[3:4]
	v_cndmask_b32_e64 v3, 0, 4, s1
	v_cmp_gt_u32_e64 s1, 30, v9
	v_add_lshl_u32 v7, v3, v9, 2
	ds_bpermute_b32 v3, v7, v1
	ds_bpermute_b32 v4, v7, v2
	s_waitcnt lgkmcnt(0)
	v_add_f64 v[1:2], v[1:2], v[3:4]
	v_cndmask_b32_e64 v3, 0, 2, s1
	v_cmp_ne_u32_e64 s1, 31, v9
	v_add_lshl_u32 v8, v3, v9, 2
	ds_bpermute_b32 v3, v8, v1
	ds_bpermute_b32 v4, v8, v2
	s_waitcnt lgkmcnt(0)
	v_add_f64 v[1:2], v[1:2], v[3:4]
	v_add_co_ci_u32_e64 v3, null, 0, v9, s1
	v_lshlrev_b32_e32 v9, 2, v3
	ds_bpermute_b32 v3, v9, v1
	ds_bpermute_b32 v4, v9, v2
	v_cmpx_eq_u32_e32 0, v10
	s_cbranch_execz .LBB65_12
; %bb.11:
	s_waitcnt lgkmcnt(0)
	v_add_f64 v[1:2], v[1:2], v[3:4]
	v_lshrrev_b32_e32 v3, 2, v0
	v_and_b32_e32 v3, 0x78, v3
	ds_write_b64 v3, v[1:2]
.LBB65_12:
	s_or_b32 exec_lo, exec_lo, s3
	v_mov_b32_e32 v1, 0
	v_mov_b32_e32 v2, 0
	s_mov_b32 s3, exec_lo
	s_waitcnt lgkmcnt(0)
	s_barrier
	buffer_gl0_inv
	v_cmpx_gt_u32_e32 16, v0
	s_cbranch_execnz .LBB65_16
; %bb.13:
	s_or_b32 exec_lo, exec_lo, s3
	s_and_saveexec_b32 s1, s0
	s_cbranch_execnz .LBB65_17
.LBB65_14:
	s_or_b32 exec_lo, exec_lo, s1
	s_and_saveexec_b32 s0, vcc_lo
	s_cbranch_execnz .LBB65_18
.LBB65_15:
	s_endpgm
.LBB65_16:
	ds_read_b64 v[1:2], v5
	s_or_b32 exec_lo, exec_lo, s3
	s_and_saveexec_b32 s1, s0
	s_cbranch_execz .LBB65_14
.LBB65_17:
	s_waitcnt lgkmcnt(0)
	ds_bpermute_b32 v3, v6, v1
	ds_bpermute_b32 v4, v6, v2
	s_waitcnt lgkmcnt(0)
	v_add_f64 v[0:1], v[1:2], v[3:4]
	ds_bpermute_b32 v2, v7, v0
	ds_bpermute_b32 v3, v7, v1
	s_waitcnt lgkmcnt(0)
	v_add_f64 v[0:1], v[0:1], v[2:3]
	;; [unrolled: 4-line block ×4, first 2 shown]
	s_or_b32 exec_lo, exec_lo, s1
	s_and_saveexec_b32 s0, vcc_lo
	s_cbranch_execz .LBB65_15
.LBB65_18:
	s_load_dwordx4 s[8:11], s[4:5], 0x48
	v_mov_b32_e32 v0, 0
	s_waitcnt lgkmcnt(0)
	s_mul_i32 s1, s11, s2
	s_mul_hi_u32 s3, s10, s2
	s_mul_i32 s0, s10, s2
	s_add_i32 s1, s3, s1
	s_lshl_b64 s[0:1], s[0:1], 3
	s_add_u32 s2, s8, s0
	s_addc_u32 s3, s9, s1
	s_lshl_b64 s[0:1], s[6:7], 3
	s_add_u32 s0, s2, s0
	s_addc_u32 s1, s3, s1
	global_store_dwordx2 v0, v[1:2], s[0:1]
	s_endpgm
	.section	.rodata,"a",@progbits
	.p2align	6, 0x0
	.amdhsa_kernel _ZL20rocblas_trmvt_kernelILi512ELb0ELb1ELb0EPKPKdPKPdS4_EviT3_lllT4_lllT5_li
		.amdhsa_group_segment_fixed_size 256
		.amdhsa_private_segment_fixed_size 0
		.amdhsa_kernarg_size 92
		.amdhsa_user_sgpr_count 6
		.amdhsa_user_sgpr_private_segment_buffer 1
		.amdhsa_user_sgpr_dispatch_ptr 0
		.amdhsa_user_sgpr_queue_ptr 0
		.amdhsa_user_sgpr_kernarg_segment_ptr 1
		.amdhsa_user_sgpr_dispatch_id 0
		.amdhsa_user_sgpr_flat_scratch_init 0
		.amdhsa_user_sgpr_private_segment_size 0
		.amdhsa_wavefront_size32 1
		.amdhsa_uses_dynamic_stack 0
		.amdhsa_system_sgpr_private_segment_wavefront_offset 0
		.amdhsa_system_sgpr_workgroup_id_x 1
		.amdhsa_system_sgpr_workgroup_id_y 0
		.amdhsa_system_sgpr_workgroup_id_z 1
		.amdhsa_system_sgpr_workgroup_info 0
		.amdhsa_system_vgpr_workitem_id 0
		.amdhsa_next_free_vgpr 12
		.amdhsa_next_free_sgpr 24
		.amdhsa_reserve_vcc 1
		.amdhsa_reserve_flat_scratch 0
		.amdhsa_float_round_mode_32 0
		.amdhsa_float_round_mode_16_64 0
		.amdhsa_float_denorm_mode_32 3
		.amdhsa_float_denorm_mode_16_64 3
		.amdhsa_dx10_clamp 1
		.amdhsa_ieee_mode 1
		.amdhsa_fp16_overflow 0
		.amdhsa_workgroup_processor_mode 1
		.amdhsa_memory_ordered 1
		.amdhsa_forward_progress 1
		.amdhsa_shared_vgpr_count 0
		.amdhsa_exception_fp_ieee_invalid_op 0
		.amdhsa_exception_fp_denorm_src 0
		.amdhsa_exception_fp_ieee_div_zero 0
		.amdhsa_exception_fp_ieee_overflow 0
		.amdhsa_exception_fp_ieee_underflow 0
		.amdhsa_exception_fp_ieee_inexact 0
		.amdhsa_exception_int_div_zero 0
	.end_amdhsa_kernel
	.section	.text._ZL20rocblas_trmvt_kernelILi512ELb0ELb1ELb0EPKPKdPKPdS4_EviT3_lllT4_lllT5_li,"axG",@progbits,_ZL20rocblas_trmvt_kernelILi512ELb0ELb1ELb0EPKPKdPKPdS4_EviT3_lllT4_lllT5_li,comdat
.Lfunc_end65:
	.size	_ZL20rocblas_trmvt_kernelILi512ELb0ELb1ELb0EPKPKdPKPdS4_EviT3_lllT4_lllT5_li, .Lfunc_end65-_ZL20rocblas_trmvt_kernelILi512ELb0ELb1ELb0EPKPKdPKPdS4_EviT3_lllT4_lllT5_li
                                        ; -- End function
	.set _ZL20rocblas_trmvt_kernelILi512ELb0ELb1ELb0EPKPKdPKPdS4_EviT3_lllT4_lllT5_li.num_vgpr, 12
	.set _ZL20rocblas_trmvt_kernelILi512ELb0ELb1ELb0EPKPKdPKPdS4_EviT3_lllT4_lllT5_li.num_agpr, 0
	.set _ZL20rocblas_trmvt_kernelILi512ELb0ELb1ELb0EPKPKdPKPdS4_EviT3_lllT4_lllT5_li.numbered_sgpr, 24
	.set _ZL20rocblas_trmvt_kernelILi512ELb0ELb1ELb0EPKPKdPKPdS4_EviT3_lllT4_lllT5_li.num_named_barrier, 0
	.set _ZL20rocblas_trmvt_kernelILi512ELb0ELb1ELb0EPKPKdPKPdS4_EviT3_lllT4_lllT5_li.private_seg_size, 0
	.set _ZL20rocblas_trmvt_kernelILi512ELb0ELb1ELb0EPKPKdPKPdS4_EviT3_lllT4_lllT5_li.uses_vcc, 1
	.set _ZL20rocblas_trmvt_kernelILi512ELb0ELb1ELb0EPKPKdPKPdS4_EviT3_lllT4_lllT5_li.uses_flat_scratch, 0
	.set _ZL20rocblas_trmvt_kernelILi512ELb0ELb1ELb0EPKPKdPKPdS4_EviT3_lllT4_lllT5_li.has_dyn_sized_stack, 0
	.set _ZL20rocblas_trmvt_kernelILi512ELb0ELb1ELb0EPKPKdPKPdS4_EviT3_lllT4_lllT5_li.has_recursion, 0
	.set _ZL20rocblas_trmvt_kernelILi512ELb0ELb1ELb0EPKPKdPKPdS4_EviT3_lllT4_lllT5_li.has_indirect_call, 0
	.section	.AMDGPU.csdata,"",@progbits
; Kernel info:
; codeLenInByte = 1196
; TotalNumSgprs: 26
; NumVgprs: 12
; ScratchSize: 0
; MemoryBound: 1
; FloatMode: 240
; IeeeMode: 1
; LDSByteSize: 256 bytes/workgroup (compile time only)
; SGPRBlocks: 0
; VGPRBlocks: 1
; NumSGPRsForWavesPerEU: 26
; NumVGPRsForWavesPerEU: 12
; Occupancy: 16
; WaveLimiterHint : 1
; COMPUTE_PGM_RSRC2:SCRATCH_EN: 0
; COMPUTE_PGM_RSRC2:USER_SGPR: 6
; COMPUTE_PGM_RSRC2:TRAP_HANDLER: 0
; COMPUTE_PGM_RSRC2:TGID_X_EN: 1
; COMPUTE_PGM_RSRC2:TGID_Y_EN: 0
; COMPUTE_PGM_RSRC2:TGID_Z_EN: 1
; COMPUTE_PGM_RSRC2:TIDIG_COMP_CNT: 0
	.section	.text._ZL20rocblas_trmvn_kernelILi64ELi16ELb1ELb1EPKPKdPKPdS4_EviT3_lllT4_lllT5_li,"axG",@progbits,_ZL20rocblas_trmvn_kernelILi64ELi16ELb1ELb1EPKPKdPKPdS4_EviT3_lllT4_lllT5_li,comdat
	.globl	_ZL20rocblas_trmvn_kernelILi64ELi16ELb1ELb1EPKPKdPKPdS4_EviT3_lllT4_lllT5_li ; -- Begin function _ZL20rocblas_trmvn_kernelILi64ELi16ELb1ELb1EPKPKdPKPdS4_EviT3_lllT4_lllT5_li
	.p2align	8
	.type	_ZL20rocblas_trmvn_kernelILi64ELi16ELb1ELb1EPKPKdPKPdS4_EviT3_lllT4_lllT5_li,@function
_ZL20rocblas_trmvn_kernelILi64ELi16ELb1ELb1EPKPKdPKPdS4_EviT3_lllT4_lllT5_li: ; @_ZL20rocblas_trmvn_kernelILi64ELi16ELb1ELb1EPKPKdPKPdS4_EviT3_lllT4_lllT5_li
; %bb.0:
	s_clause 0x1
	s_load_dwordx4 s[0:3], s[4:5], 0x8
	s_load_dwordx4 s[8:11], s[4:5], 0x28
	s_mov_b32 s12, s7
	s_mov_b32 s13, 0
	s_clause 0x1
	s_load_dword s18, s[4:5], 0x0
	s_load_dwordx2 s[14:15], s[4:5], 0x38
	s_lshl_b64 s[20:21], s[12:13], 3
	v_lshl_add_u32 v2, s6, 6, v0
	v_mov_b32_e32 v4, 0
	v_mov_b32_e32 v5, 0
	s_waitcnt lgkmcnt(0)
	s_add_u32 s16, s0, s20
	s_addc_u32 s17, s1, s21
	s_add_u32 s0, s8, s20
	s_addc_u32 s1, s9, s21
	v_cmp_gt_i32_e32 vcc_lo, s18, v2
	s_load_dwordx2 s[8:9], s[0:1], 0x0
	v_cmp_eq_u32_e64 s0, 0, v1
	s_and_b32 s0, s0, vcc_lo
	s_and_saveexec_b32 s1, s0
	s_cbranch_execz .LBB66_2
; %bb.1:
	v_ashrrev_i32_e32 v5, 31, v2
	v_mul_lo_u32 v6, s15, v2
	v_mad_u64_u32 v[3:4], null, s14, v2, 0
	s_lshl_b64 s[6:7], s[10:11], 3
	v_mul_lo_u32 v5, s14, v5
	s_waitcnt lgkmcnt(0)
	s_add_u32 s0, s8, s6
	s_addc_u32 s6, s9, s7
	v_add3_u32 v4, v4, v5, v6
	v_lshlrev_b64 v[3:4], 3, v[3:4]
	v_add_co_u32 v3, s0, s0, v3
	v_add_co_ci_u32_e64 v4, null, s6, v4, s0
	flat_load_dwordx2 v[4:5], v[3:4]
.LBB66_2:
	s_or_b32 exec_lo, exec_lo, s1
	s_load_dword s13, s[4:5], 0x6c
	s_mov_b32 s19, exec_lo
	v_cmpx_gt_i32_e64 s18, v1
	s_cbranch_execz .LBB66_8
; %bb.3:
	s_load_dwordx2 s[6:7], s[4:5], 0x18
	v_mad_u64_u32 v[8:9], null, s14, v1, 0
	s_load_dwordx2 s[16:17], s[16:17], 0x0
	s_lshl_b64 s[0:1], s[10:11], 3
	s_waitcnt lgkmcnt(0)
	s_add_u32 s8, s8, s0
	s_addc_u32 s9, s9, s1
	s_lshl_b64 s[0:1], s[2:3], 3
	s_lshl_b64 s[2:3], s[14:15], 7
	v_mad_u64_u32 v[6:7], null, s6, v1, 0
	v_mov_b32_e32 v3, v7
	s_waitcnt vmcnt(0)
	v_mad_u64_u32 v[10:11], null, s7, v1, v[3:4]
	v_mov_b32_e32 v3, v9
	s_lshl_b64 s[6:7], s[6:7], 7
	v_mov_b32_e32 v7, v10
	v_mad_u64_u32 v[9:10], null, s15, v1, v[3:4]
	v_ashrrev_i32_e32 v3, 31, v2
	v_lshlrev_b64 v[6:7], 3, v[6:7]
	v_lshlrev_b64 v[10:11], 3, v[2:3]
	v_add_co_u32 v3, s0, v6, s0
	v_add_co_ci_u32_e64 v12, null, s1, v7, s0
	v_lshlrev_b64 v[6:7], 3, v[8:9]
	v_add_co_u32 v3, s0, v3, v10
	v_add_co_ci_u32_e64 v9, null, v12, v11, s0
	v_add_co_u32 v6, s0, s8, v6
	v_add_co_ci_u32_e64 v7, null, s9, v7, s0
	;; [unrolled: 2-line block ×3, first 2 shown]
	v_mov_b32_e32 v3, v1
	s_mov_b32 s8, 0
	s_inst_prefetch 0x1
	s_branch .LBB66_5
	.p2align	6
.LBB66_4:                               ;   in Loop: Header=BB66_5 Depth=1
	s_or_b32 exec_lo, exec_lo, s0
	v_add_nc_u32_e32 v3, 16, v3
	v_add_co_u32 v6, s0, v6, s2
	v_add_co_ci_u32_e64 v7, null, s3, v7, s0
	v_cmp_le_i32_e64 s0, s18, v3
	v_add_co_u32 v8, s1, v8, s6
	v_add_co_ci_u32_e64 v9, null, s7, v9, s1
	s_or_b32 s8, s0, s8
	s_andn2_b32 exec_lo, exec_lo, s8
	s_cbranch_execz .LBB66_7
.LBB66_5:                               ; =>This Inner Loop Header: Depth=1
	v_cmp_lt_i32_e64 s0, v3, v2
	s_and_b32 s1, vcc_lo, s0
	s_and_saveexec_b32 s0, s1
	s_cbranch_execz .LBB66_4
; %bb.6:                                ;   in Loop: Header=BB66_5 Depth=1
	flat_load_dwordx2 v[10:11], v[8:9]
	flat_load_dwordx2 v[12:13], v[6:7]
	s_waitcnt vmcnt(0) lgkmcnt(0)
	v_fma_f64 v[4:5], v[10:11], v[12:13], v[4:5]
	s_branch .LBB66_4
.LBB66_7:
	s_inst_prefetch 0x2
	s_or_b32 exec_lo, exec_lo, s8
.LBB66_8:
	s_or_b32 exec_lo, exec_lo, s19
	v_lshlrev_b32_e32 v3, 3, v0
	s_waitcnt lgkmcnt(0)
	s_and_b32 s1, 0xffff, s13
	s_mov_b32 s2, exec_lo
	v_mad_u32_u24 v0, v1, s1, v0
	v_lshl_add_u32 v6, v1, 9, v3
	s_waitcnt vmcnt(0)
	ds_write_b64 v6, v[4:5]
	s_waitcnt lgkmcnt(0)
	s_barrier
	buffer_gl0_inv
	v_cmpx_gt_u32_e32 64, v0
	s_cbranch_execz .LBB66_11
; %bb.9:
	v_mul_u32_u24_e32 v0, s1, v1
	v_lshl_add_u32 v11, v0, 3, v3
	ds_read2st64_b64 v[3:6], v11 offset1:1
	ds_read2st64_b64 v[7:10], v11 offset0:2 offset1:3
	s_waitcnt lgkmcnt(1)
	v_add_f64 v[0:1], v[3:4], v[5:6]
	s_waitcnt lgkmcnt(0)
	v_add_f64 v[0:1], v[7:8], v[0:1]
	v_add_f64 v[0:1], v[9:10], v[0:1]
	ds_read2st64_b64 v[3:6], v11 offset0:4 offset1:5
	ds_read2st64_b64 v[7:10], v11 offset0:6 offset1:7
	s_waitcnt lgkmcnt(1)
	v_add_f64 v[0:1], v[3:4], v[0:1]
	v_add_f64 v[0:1], v[5:6], v[0:1]
	s_waitcnt lgkmcnt(0)
	v_add_f64 v[0:1], v[7:8], v[0:1]
	v_add_f64 v[0:1], v[9:10], v[0:1]
	ds_read2st64_b64 v[3:6], v11 offset0:8 offset1:9
	ds_read2st64_b64 v[7:10], v11 offset0:10 offset1:11
	s_waitcnt lgkmcnt(1)
	v_add_f64 v[0:1], v[3:4], v[0:1]
	;; [unrolled: 8-line block ×3, first 2 shown]
	v_add_f64 v[0:1], v[5:6], v[0:1]
	s_waitcnt lgkmcnt(0)
	v_add_f64 v[0:1], v[7:8], v[0:1]
	v_add_f64 v[0:1], v[9:10], v[0:1]
	ds_write_b64 v11, v[0:1]
	s_and_b32 exec_lo, exec_lo, vcc_lo
	s_cbranch_execz .LBB66_11
; %bb.10:
	s_load_dwordx4 s[0:3], s[4:5], 0x48
	v_ashrrev_i32_e32 v3, 31, v2
	v_lshlrev_b64 v[2:3], 3, v[2:3]
	s_waitcnt lgkmcnt(0)
	s_mul_i32 s3, s3, s12
	s_mul_hi_u32 s4, s2, s12
	s_mul_i32 s2, s2, s12
	s_add_i32 s3, s4, s3
	s_lshl_b64 s[2:3], s[2:3], 3
	s_add_u32 s0, s0, s2
	s_addc_u32 s1, s1, s3
	v_add_co_u32 v2, vcc_lo, s0, v2
	v_add_co_ci_u32_e64 v3, null, s1, v3, vcc_lo
	global_store_dwordx2 v[2:3], v[0:1], off
.LBB66_11:
	s_endpgm
	.section	.rodata,"a",@progbits
	.p2align	6, 0x0
	.amdhsa_kernel _ZL20rocblas_trmvn_kernelILi64ELi16ELb1ELb1EPKPKdPKPdS4_EviT3_lllT4_lllT5_li
		.amdhsa_group_segment_fixed_size 8192
		.amdhsa_private_segment_fixed_size 0
		.amdhsa_kernarg_size 352
		.amdhsa_user_sgpr_count 6
		.amdhsa_user_sgpr_private_segment_buffer 1
		.amdhsa_user_sgpr_dispatch_ptr 0
		.amdhsa_user_sgpr_queue_ptr 0
		.amdhsa_user_sgpr_kernarg_segment_ptr 1
		.amdhsa_user_sgpr_dispatch_id 0
		.amdhsa_user_sgpr_flat_scratch_init 0
		.amdhsa_user_sgpr_private_segment_size 0
		.amdhsa_wavefront_size32 1
		.amdhsa_uses_dynamic_stack 0
		.amdhsa_system_sgpr_private_segment_wavefront_offset 0
		.amdhsa_system_sgpr_workgroup_id_x 1
		.amdhsa_system_sgpr_workgroup_id_y 0
		.amdhsa_system_sgpr_workgroup_id_z 1
		.amdhsa_system_sgpr_workgroup_info 0
		.amdhsa_system_vgpr_workitem_id 1
		.amdhsa_next_free_vgpr 14
		.amdhsa_next_free_sgpr 22
		.amdhsa_reserve_vcc 1
		.amdhsa_reserve_flat_scratch 0
		.amdhsa_float_round_mode_32 0
		.amdhsa_float_round_mode_16_64 0
		.amdhsa_float_denorm_mode_32 3
		.amdhsa_float_denorm_mode_16_64 3
		.amdhsa_dx10_clamp 1
		.amdhsa_ieee_mode 1
		.amdhsa_fp16_overflow 0
		.amdhsa_workgroup_processor_mode 1
		.amdhsa_memory_ordered 1
		.amdhsa_forward_progress 1
		.amdhsa_shared_vgpr_count 0
		.amdhsa_exception_fp_ieee_invalid_op 0
		.amdhsa_exception_fp_denorm_src 0
		.amdhsa_exception_fp_ieee_div_zero 0
		.amdhsa_exception_fp_ieee_overflow 0
		.amdhsa_exception_fp_ieee_underflow 0
		.amdhsa_exception_fp_ieee_inexact 0
		.amdhsa_exception_int_div_zero 0
	.end_amdhsa_kernel
	.section	.text._ZL20rocblas_trmvn_kernelILi64ELi16ELb1ELb1EPKPKdPKPdS4_EviT3_lllT4_lllT5_li,"axG",@progbits,_ZL20rocblas_trmvn_kernelILi64ELi16ELb1ELb1EPKPKdPKPdS4_EviT3_lllT4_lllT5_li,comdat
.Lfunc_end66:
	.size	_ZL20rocblas_trmvn_kernelILi64ELi16ELb1ELb1EPKPKdPKPdS4_EviT3_lllT4_lllT5_li, .Lfunc_end66-_ZL20rocblas_trmvn_kernelILi64ELi16ELb1ELb1EPKPKdPKPdS4_EviT3_lllT4_lllT5_li
                                        ; -- End function
	.set _ZL20rocblas_trmvn_kernelILi64ELi16ELb1ELb1EPKPKdPKPdS4_EviT3_lllT4_lllT5_li.num_vgpr, 14
	.set _ZL20rocblas_trmvn_kernelILi64ELi16ELb1ELb1EPKPKdPKPdS4_EviT3_lllT4_lllT5_li.num_agpr, 0
	.set _ZL20rocblas_trmvn_kernelILi64ELi16ELb1ELb1EPKPKdPKPdS4_EviT3_lllT4_lllT5_li.numbered_sgpr, 22
	.set _ZL20rocblas_trmvn_kernelILi64ELi16ELb1ELb1EPKPKdPKPdS4_EviT3_lllT4_lllT5_li.num_named_barrier, 0
	.set _ZL20rocblas_trmvn_kernelILi64ELi16ELb1ELb1EPKPKdPKPdS4_EviT3_lllT4_lllT5_li.private_seg_size, 0
	.set _ZL20rocblas_trmvn_kernelILi64ELi16ELb1ELb1EPKPKdPKPdS4_EviT3_lllT4_lllT5_li.uses_vcc, 1
	.set _ZL20rocblas_trmvn_kernelILi64ELi16ELb1ELb1EPKPKdPKPdS4_EviT3_lllT4_lllT5_li.uses_flat_scratch, 0
	.set _ZL20rocblas_trmvn_kernelILi64ELi16ELb1ELb1EPKPKdPKPdS4_EviT3_lllT4_lllT5_li.has_dyn_sized_stack, 0
	.set _ZL20rocblas_trmvn_kernelILi64ELi16ELb1ELb1EPKPKdPKPdS4_EviT3_lllT4_lllT5_li.has_recursion, 0
	.set _ZL20rocblas_trmvn_kernelILi64ELi16ELb1ELb1EPKPKdPKPdS4_EviT3_lllT4_lllT5_li.has_indirect_call, 0
	.section	.AMDGPU.csdata,"",@progbits
; Kernel info:
; codeLenInByte = 968
; TotalNumSgprs: 24
; NumVgprs: 14
; ScratchSize: 0
; MemoryBound: 1
; FloatMode: 240
; IeeeMode: 1
; LDSByteSize: 8192 bytes/workgroup (compile time only)
; SGPRBlocks: 0
; VGPRBlocks: 1
; NumSGPRsForWavesPerEU: 24
; NumVGPRsForWavesPerEU: 14
; Occupancy: 16
; WaveLimiterHint : 1
; COMPUTE_PGM_RSRC2:SCRATCH_EN: 0
; COMPUTE_PGM_RSRC2:USER_SGPR: 6
; COMPUTE_PGM_RSRC2:TRAP_HANDLER: 0
; COMPUTE_PGM_RSRC2:TGID_X_EN: 1
; COMPUTE_PGM_RSRC2:TGID_Y_EN: 0
; COMPUTE_PGM_RSRC2:TGID_Z_EN: 1
; COMPUTE_PGM_RSRC2:TIDIG_COMP_CNT: 1
	.section	.text._ZL20rocblas_trmvt_kernelILi512ELb1ELb0ELb1EPKPKdPKPdS4_EviT3_lllT4_lllT5_li,"axG",@progbits,_ZL20rocblas_trmvt_kernelILi512ELb1ELb0ELb1EPKPKdPKPdS4_EviT3_lllT4_lllT5_li,comdat
	.globl	_ZL20rocblas_trmvt_kernelILi512ELb1ELb0ELb1EPKPKdPKPdS4_EviT3_lllT4_lllT5_li ; -- Begin function _ZL20rocblas_trmvt_kernelILi512ELb1ELb0ELb1EPKPKdPKPdS4_EviT3_lllT4_lllT5_li
	.p2align	8
	.type	_ZL20rocblas_trmvt_kernelILi512ELb1ELb0ELb1EPKPKdPKPdS4_EviT3_lllT4_lllT5_li,@function
_ZL20rocblas_trmvt_kernelILi512ELb1ELb0ELb1EPKPKdPKPdS4_EviT3_lllT4_lllT5_li: ; @_ZL20rocblas_trmvt_kernelILi512ELb1ELb0ELb1EPKPKdPKPdS4_EviT3_lllT4_lllT5_li
; %bb.0:
	s_clause 0x1
	s_load_dwordx4 s[8:11], s[4:5], 0x8
	s_load_dwordx4 s[0:3], s[4:5], 0x28
	s_mov_b32 s12, s7
	s_mov_b32 s13, 0
	v_mov_b32_e32 v1, 0
	s_lshl_b64 s[14:15], s[12:13], 3
	v_mov_b32_e32 v2, 0
	v_cmp_eq_u32_e32 vcc_lo, 0, v0
	s_waitcnt lgkmcnt(0)
	s_add_u32 s16, s8, s14
	s_addc_u32 s17, s9, s15
	s_add_u32 s0, s0, s14
	s_addc_u32 s1, s1, s15
	s_load_dwordx2 s[8:9], s[4:5], 0x38
	s_load_dwordx2 s[14:15], s[0:1], 0x0
	s_ashr_i32 s7, s6, 31
	s_and_saveexec_b32 s0, vcc_lo
	s_cbranch_execz .LBB67_2
; %bb.1:
	s_lshl_b64 s[18:19], s[2:3], 3
	s_waitcnt lgkmcnt(0)
	s_mul_i32 s1, s8, s7
	s_add_u32 s13, s14, s18
	s_mul_hi_u32 s18, s8, s6
	s_addc_u32 s20, s15, s19
	s_add_i32 s1, s18, s1
	s_mul_i32 s18, s9, s6
	s_add_i32 s19, s1, s18
	s_mul_i32 s18, s8, s6
	s_lshl_b64 s[18:19], s[18:19], 3
	s_add_u32 s18, s13, s18
	s_addc_u32 s19, s20, s19
	v_mov_b32_e32 v1, s18
	v_mov_b32_e32 v2, s19
	flat_load_dwordx2 v[1:2], v[1:2]
	s_waitcnt vmcnt(0) lgkmcnt(0)
	v_add_f64 v[1:2], v[1:2], 0
.LBB67_2:
	s_or_b32 exec_lo, exec_lo, s0
	s_load_dword s18, s[4:5], 0x0
	s_waitcnt lgkmcnt(0)
	v_cmp_gt_i32_e64 s0, s18, v0
	s_and_saveexec_b32 s13, s0
	s_cbranch_execz .LBB67_8
; %bb.3:
	s_load_dwordx2 s[16:17], s[16:17], 0x0
	s_load_dwordx2 s[20:21], s[4:5], 0x18
	v_mad_u64_u32 v[3:4], null, s8, v0, 0
	v_cndmask_b32_e64 v6, 0, v0, s0
	s_lshl_b64 s[0:1], s[10:11], 3
	v_mad_u64_u32 v[4:5], null, s9, v0, v[4:5]
	v_lshlrev_b32_e32 v5, 3, v6
	s_waitcnt lgkmcnt(0)
	s_add_u32 s10, s16, s0
	s_mul_i32 s11, s20, s7
	s_mul_hi_u32 s16, s20, s6
	s_mul_i32 s19, s21, s6
	s_addc_u32 s17, s17, s1
	s_add_i32 s1, s16, s11
	v_add_co_u32 v7, s10, s10, v5
	s_mul_i32 s0, s20, s6
	s_add_i32 s1, s1, s19
	v_add_co_ci_u32_e64 v8, null, s17, 0, s10
	s_lshl_b64 s[0:1], s[0:1], 3
	v_lshlrev_b64 v[5:6], 3, v[3:4]
	s_lshl_b64 s[2:3], s[2:3], 3
	v_add_co_u32 v3, s0, v7, s0
	v_add_co_ci_u32_e64 v4, null, s1, v8, s0
	s_add_u32 s0, s14, s2
	s_addc_u32 s1, s15, s3
	v_add_co_u32 v5, s0, s0, v5
	v_add_co_ci_u32_e64 v6, null, s1, v6, s0
	v_mov_b32_e32 v7, v0
	s_mov_b32 s10, 0
	s_lshl_b64 s[2:3], s[8:9], 12
	s_inst_prefetch 0x1
	s_branch .LBB67_5
	.p2align	6
.LBB67_4:                               ;   in Loop: Header=BB67_5 Depth=1
	s_or_b32 exec_lo, exec_lo, s1
	v_add_nc_u32_e32 v7, 0x200, v7
	v_add_co_u32 v3, s0, 0x1000, v3
	v_add_co_ci_u32_e64 v4, null, 0, v4, s0
	v_cmp_le_i32_e64 s0, s18, v7
	v_add_co_u32 v5, s1, v5, s2
	v_add_co_ci_u32_e64 v6, null, s3, v6, s1
	s_or_b32 s10, s0, s10
	s_andn2_b32 exec_lo, exec_lo, s10
	s_cbranch_execz .LBB67_7
.LBB67_5:                               ; =>This Inner Loop Header: Depth=1
	s_mov_b32 s1, exec_lo
	v_cmpx_lt_i32_e64 s6, v7
	s_cbranch_execz .LBB67_4
; %bb.6:                                ;   in Loop: Header=BB67_5 Depth=1
	flat_load_dwordx2 v[8:9], v[3:4]
	flat_load_dwordx2 v[10:11], v[5:6]
	s_waitcnt vmcnt(0) lgkmcnt(0)
	v_fma_f64 v[1:2], v[8:9], v[10:11], v[1:2]
	s_branch .LBB67_4
.LBB67_7:
	s_inst_prefetch 0x2
	s_or_b32 exec_lo, exec_lo, s10
.LBB67_8:
	s_or_b32 exec_lo, exec_lo, s13
	v_and_b32_e32 v10, 31, v0
	v_cmp_gt_u32_e64 s0, 32, v0
	v_lshlrev_b32_e32 v5, 3, v10
	s_and_saveexec_b32 s1, s0
; %bb.9:
	v_mov_b32_e32 v3, 0
	v_mov_b32_e32 v4, v3
	ds_write_b64 v5, v[3:4]
; %bb.10:
	s_or_b32 exec_lo, exec_lo, s1
	v_mbcnt_lo_u32_b32 v9, -1, 0
	s_mov_b32 s2, exec_lo
	s_waitcnt lgkmcnt(0)
	s_barrier
	buffer_gl0_inv
	v_lshl_or_b32 v4, v9, 2, 64
	v_cmp_gt_u32_e64 s1, 24, v9
	ds_bpermute_b32 v3, v4, v1
	ds_bpermute_b32 v4, v4, v2
	s_waitcnt lgkmcnt(0)
	v_add_f64 v[1:2], v[1:2], v[3:4]
	v_cndmask_b32_e64 v3, 0, 8, s1
	v_cmp_gt_u32_e64 s1, 28, v9
	v_add_lshl_u32 v6, v3, v9, 2
	ds_bpermute_b32 v3, v6, v1
	ds_bpermute_b32 v4, v6, v2
	s_waitcnt lgkmcnt(0)
	v_add_f64 v[1:2], v[1:2], v[3:4]
	v_cndmask_b32_e64 v3, 0, 4, s1
	v_cmp_gt_u32_e64 s1, 30, v9
	v_add_lshl_u32 v7, v3, v9, 2
	ds_bpermute_b32 v3, v7, v1
	ds_bpermute_b32 v4, v7, v2
	s_waitcnt lgkmcnt(0)
	v_add_f64 v[1:2], v[1:2], v[3:4]
	v_cndmask_b32_e64 v3, 0, 2, s1
	v_cmp_ne_u32_e64 s1, 31, v9
	v_add_lshl_u32 v8, v3, v9, 2
	ds_bpermute_b32 v3, v8, v1
	ds_bpermute_b32 v4, v8, v2
	s_waitcnt lgkmcnt(0)
	v_add_f64 v[1:2], v[1:2], v[3:4]
	v_add_co_ci_u32_e64 v3, null, 0, v9, s1
	v_lshlrev_b32_e32 v9, 2, v3
	ds_bpermute_b32 v3, v9, v1
	ds_bpermute_b32 v4, v9, v2
	v_cmpx_eq_u32_e32 0, v10
	s_cbranch_execz .LBB67_12
; %bb.11:
	s_waitcnt lgkmcnt(0)
	v_add_f64 v[1:2], v[1:2], v[3:4]
	v_lshrrev_b32_e32 v3, 2, v0
	v_and_b32_e32 v3, 0x78, v3
	ds_write_b64 v3, v[1:2]
.LBB67_12:
	s_or_b32 exec_lo, exec_lo, s2
	v_mov_b32_e32 v1, 0
	v_mov_b32_e32 v2, 0
	s_mov_b32 s2, exec_lo
	s_waitcnt lgkmcnt(0)
	s_barrier
	buffer_gl0_inv
	v_cmpx_gt_u32_e32 16, v0
	s_cbranch_execnz .LBB67_16
; %bb.13:
	s_or_b32 exec_lo, exec_lo, s2
	s_and_saveexec_b32 s1, s0
	s_cbranch_execnz .LBB67_17
.LBB67_14:
	s_or_b32 exec_lo, exec_lo, s1
	s_and_saveexec_b32 s0, vcc_lo
	s_cbranch_execnz .LBB67_18
.LBB67_15:
	s_endpgm
.LBB67_16:
	ds_read_b64 v[1:2], v5
	s_or_b32 exec_lo, exec_lo, s2
	s_and_saveexec_b32 s1, s0
	s_cbranch_execz .LBB67_14
.LBB67_17:
	s_waitcnt lgkmcnt(0)
	ds_bpermute_b32 v3, v6, v1
	ds_bpermute_b32 v4, v6, v2
	s_waitcnt lgkmcnt(0)
	v_add_f64 v[0:1], v[1:2], v[3:4]
	ds_bpermute_b32 v2, v7, v0
	ds_bpermute_b32 v3, v7, v1
	s_waitcnt lgkmcnt(0)
	v_add_f64 v[0:1], v[0:1], v[2:3]
	;; [unrolled: 4-line block ×4, first 2 shown]
	s_or_b32 exec_lo, exec_lo, s1
	s_and_saveexec_b32 s0, vcc_lo
	s_cbranch_execz .LBB67_15
.LBB67_18:
	s_load_dwordx4 s[0:3], s[4:5], 0x48
	v_mov_b32_e32 v0, 0
	s_waitcnt lgkmcnt(0)
	s_mul_i32 s3, s3, s12
	s_mul_hi_u32 s4, s2, s12
	s_mul_i32 s2, s2, s12
	s_add_i32 s3, s4, s3
	s_lshl_b64 s[2:3], s[2:3], 3
	s_add_u32 s2, s0, s2
	s_addc_u32 s3, s1, s3
	s_lshl_b64 s[0:1], s[6:7], 3
	s_add_u32 s0, s2, s0
	s_addc_u32 s1, s3, s1
	global_store_dwordx2 v0, v[1:2], s[0:1]
	s_endpgm
	.section	.rodata,"a",@progbits
	.p2align	6, 0x0
	.amdhsa_kernel _ZL20rocblas_trmvt_kernelILi512ELb1ELb0ELb1EPKPKdPKPdS4_EviT3_lllT4_lllT5_li
		.amdhsa_group_segment_fixed_size 256
		.amdhsa_private_segment_fixed_size 0
		.amdhsa_kernarg_size 92
		.amdhsa_user_sgpr_count 6
		.amdhsa_user_sgpr_private_segment_buffer 1
		.amdhsa_user_sgpr_dispatch_ptr 0
		.amdhsa_user_sgpr_queue_ptr 0
		.amdhsa_user_sgpr_kernarg_segment_ptr 1
		.amdhsa_user_sgpr_dispatch_id 0
		.amdhsa_user_sgpr_flat_scratch_init 0
		.amdhsa_user_sgpr_private_segment_size 0
		.amdhsa_wavefront_size32 1
		.amdhsa_uses_dynamic_stack 0
		.amdhsa_system_sgpr_private_segment_wavefront_offset 0
		.amdhsa_system_sgpr_workgroup_id_x 1
		.amdhsa_system_sgpr_workgroup_id_y 0
		.amdhsa_system_sgpr_workgroup_id_z 1
		.amdhsa_system_sgpr_workgroup_info 0
		.amdhsa_system_vgpr_workitem_id 0
		.amdhsa_next_free_vgpr 12
		.amdhsa_next_free_sgpr 22
		.amdhsa_reserve_vcc 1
		.amdhsa_reserve_flat_scratch 0
		.amdhsa_float_round_mode_32 0
		.amdhsa_float_round_mode_16_64 0
		.amdhsa_float_denorm_mode_32 3
		.amdhsa_float_denorm_mode_16_64 3
		.amdhsa_dx10_clamp 1
		.amdhsa_ieee_mode 1
		.amdhsa_fp16_overflow 0
		.amdhsa_workgroup_processor_mode 1
		.amdhsa_memory_ordered 1
		.amdhsa_forward_progress 1
		.amdhsa_shared_vgpr_count 0
		.amdhsa_exception_fp_ieee_invalid_op 0
		.amdhsa_exception_fp_denorm_src 0
		.amdhsa_exception_fp_ieee_div_zero 0
		.amdhsa_exception_fp_ieee_overflow 0
		.amdhsa_exception_fp_ieee_underflow 0
		.amdhsa_exception_fp_ieee_inexact 0
		.amdhsa_exception_int_div_zero 0
	.end_amdhsa_kernel
	.section	.text._ZL20rocblas_trmvt_kernelILi512ELb1ELb0ELb1EPKPKdPKPdS4_EviT3_lllT4_lllT5_li,"axG",@progbits,_ZL20rocblas_trmvt_kernelILi512ELb1ELb0ELb1EPKPKdPKPdS4_EviT3_lllT4_lllT5_li,comdat
.Lfunc_end67:
	.size	_ZL20rocblas_trmvt_kernelILi512ELb1ELb0ELb1EPKPKdPKPdS4_EviT3_lllT4_lllT5_li, .Lfunc_end67-_ZL20rocblas_trmvt_kernelILi512ELb1ELb0ELb1EPKPKdPKPdS4_EviT3_lllT4_lllT5_li
                                        ; -- End function
	.set _ZL20rocblas_trmvt_kernelILi512ELb1ELb0ELb1EPKPKdPKPdS4_EviT3_lllT4_lllT5_li.num_vgpr, 12
	.set _ZL20rocblas_trmvt_kernelILi512ELb1ELb0ELb1EPKPKdPKPdS4_EviT3_lllT4_lllT5_li.num_agpr, 0
	.set _ZL20rocblas_trmvt_kernelILi512ELb1ELb0ELb1EPKPKdPKPdS4_EviT3_lllT4_lllT5_li.numbered_sgpr, 22
	.set _ZL20rocblas_trmvt_kernelILi512ELb1ELb0ELb1EPKPKdPKPdS4_EviT3_lllT4_lllT5_li.num_named_barrier, 0
	.set _ZL20rocblas_trmvt_kernelILi512ELb1ELb0ELb1EPKPKdPKPdS4_EviT3_lllT4_lllT5_li.private_seg_size, 0
	.set _ZL20rocblas_trmvt_kernelILi512ELb1ELb0ELb1EPKPKdPKPdS4_EviT3_lllT4_lllT5_li.uses_vcc, 1
	.set _ZL20rocblas_trmvt_kernelILi512ELb1ELb0ELb1EPKPKdPKPdS4_EviT3_lllT4_lllT5_li.uses_flat_scratch, 0
	.set _ZL20rocblas_trmvt_kernelILi512ELb1ELb0ELb1EPKPKdPKPdS4_EviT3_lllT4_lllT5_li.has_dyn_sized_stack, 0
	.set _ZL20rocblas_trmvt_kernelILi512ELb1ELb0ELb1EPKPKdPKPdS4_EviT3_lllT4_lllT5_li.has_recursion, 0
	.set _ZL20rocblas_trmvt_kernelILi512ELb1ELb0ELb1EPKPKdPKPdS4_EviT3_lllT4_lllT5_li.has_indirect_call, 0
	.section	.AMDGPU.csdata,"",@progbits
; Kernel info:
; codeLenInByte = 1132
; TotalNumSgprs: 24
; NumVgprs: 12
; ScratchSize: 0
; MemoryBound: 1
; FloatMode: 240
; IeeeMode: 1
; LDSByteSize: 256 bytes/workgroup (compile time only)
; SGPRBlocks: 0
; VGPRBlocks: 1
; NumSGPRsForWavesPerEU: 24
; NumVGPRsForWavesPerEU: 12
; Occupancy: 16
; WaveLimiterHint : 1
; COMPUTE_PGM_RSRC2:SCRATCH_EN: 0
; COMPUTE_PGM_RSRC2:USER_SGPR: 6
; COMPUTE_PGM_RSRC2:TRAP_HANDLER: 0
; COMPUTE_PGM_RSRC2:TGID_X_EN: 1
; COMPUTE_PGM_RSRC2:TGID_Y_EN: 0
; COMPUTE_PGM_RSRC2:TGID_Z_EN: 1
; COMPUTE_PGM_RSRC2:TIDIG_COMP_CNT: 0
	.section	.text._ZL20rocblas_trmvt_kernelILi512ELb1ELb1ELb1EPKPKdPKPdS4_EviT3_lllT4_lllT5_li,"axG",@progbits,_ZL20rocblas_trmvt_kernelILi512ELb1ELb1ELb1EPKPKdPKPdS4_EviT3_lllT4_lllT5_li,comdat
	.globl	_ZL20rocblas_trmvt_kernelILi512ELb1ELb1ELb1EPKPKdPKPdS4_EviT3_lllT4_lllT5_li ; -- Begin function _ZL20rocblas_trmvt_kernelILi512ELb1ELb1ELb1EPKPKdPKPdS4_EviT3_lllT4_lllT5_li
	.p2align	8
	.type	_ZL20rocblas_trmvt_kernelILi512ELb1ELb1ELb1EPKPKdPKPdS4_EviT3_lllT4_lllT5_li,@function
_ZL20rocblas_trmvt_kernelILi512ELb1ELb1ELb1EPKPKdPKPdS4_EviT3_lllT4_lllT5_li: ; @_ZL20rocblas_trmvt_kernelILi512ELb1ELb1ELb1EPKPKdPKPdS4_EviT3_lllT4_lllT5_li
; %bb.0:
	s_clause 0x1
	s_load_dwordx4 s[8:11], s[4:5], 0x8
	s_load_dwordx4 s[0:3], s[4:5], 0x28
	s_mov_b32 s12, s7
	s_mov_b32 s13, 0
	v_mov_b32_e32 v1, 0
	s_lshl_b64 s[14:15], s[12:13], 3
	v_mov_b32_e32 v2, 0
	v_cmp_eq_u32_e32 vcc_lo, 0, v0
	s_waitcnt lgkmcnt(0)
	s_add_u32 s16, s8, s14
	s_addc_u32 s17, s9, s15
	s_add_u32 s0, s0, s14
	s_addc_u32 s1, s1, s15
	s_load_dwordx2 s[8:9], s[4:5], 0x38
	s_load_dwordx2 s[14:15], s[0:1], 0x0
	s_ashr_i32 s7, s6, 31
	s_and_saveexec_b32 s0, vcc_lo
	s_cbranch_execz .LBB68_2
; %bb.1:
	s_lshl_b64 s[18:19], s[2:3], 3
	s_waitcnt lgkmcnt(0)
	s_mul_i32 s1, s8, s7
	s_add_u32 s13, s14, s18
	s_mul_hi_u32 s18, s8, s6
	s_addc_u32 s20, s15, s19
	s_add_i32 s1, s18, s1
	s_mul_i32 s18, s9, s6
	s_add_i32 s19, s1, s18
	s_mul_i32 s18, s8, s6
	s_lshl_b64 s[18:19], s[18:19], 3
	s_add_u32 s18, s13, s18
	s_addc_u32 s19, s20, s19
	v_mov_b32_e32 v1, s18
	v_mov_b32_e32 v2, s19
	flat_load_dwordx2 v[1:2], v[1:2]
	s_waitcnt vmcnt(0) lgkmcnt(0)
	v_add_f64 v[1:2], v[1:2], 0
.LBB68_2:
	s_or_b32 exec_lo, exec_lo, s0
	s_load_dword s18, s[4:5], 0x0
	s_waitcnt lgkmcnt(0)
	v_cmp_gt_i32_e64 s0, s18, v0
	s_and_saveexec_b32 s13, s0
	s_cbranch_execz .LBB68_8
; %bb.3:
	s_load_dwordx2 s[16:17], s[16:17], 0x0
	s_load_dwordx2 s[20:21], s[4:5], 0x18
	v_mad_u64_u32 v[3:4], null, s8, v0, 0
	v_cndmask_b32_e64 v6, 0, v0, s0
	s_lshl_b64 s[0:1], s[10:11], 3
	v_mad_u64_u32 v[4:5], null, s9, v0, v[4:5]
	v_lshlrev_b32_e32 v5, 3, v6
	s_waitcnt lgkmcnt(0)
	s_add_u32 s10, s16, s0
	s_mul_i32 s11, s20, s7
	s_mul_hi_u32 s16, s20, s6
	s_mul_i32 s19, s21, s6
	s_addc_u32 s17, s17, s1
	s_add_i32 s1, s16, s11
	v_add_co_u32 v7, s10, s10, v5
	s_mul_i32 s0, s20, s6
	s_add_i32 s1, s1, s19
	v_add_co_ci_u32_e64 v8, null, s17, 0, s10
	s_lshl_b64 s[0:1], s[0:1], 3
	v_lshlrev_b64 v[5:6], 3, v[3:4]
	s_lshl_b64 s[2:3], s[2:3], 3
	v_add_co_u32 v3, s0, v7, s0
	v_add_co_ci_u32_e64 v4, null, s1, v8, s0
	s_add_u32 s0, s14, s2
	s_addc_u32 s1, s15, s3
	v_add_co_u32 v5, s0, s0, v5
	v_add_co_ci_u32_e64 v6, null, s1, v6, s0
	v_mov_b32_e32 v7, v0
	s_mov_b32 s10, 0
	s_lshl_b64 s[2:3], s[8:9], 12
	s_inst_prefetch 0x1
	s_branch .LBB68_5
	.p2align	6
.LBB68_4:                               ;   in Loop: Header=BB68_5 Depth=1
	s_or_b32 exec_lo, exec_lo, s1
	v_add_nc_u32_e32 v7, 0x200, v7
	v_add_co_u32 v3, s0, 0x1000, v3
	v_add_co_ci_u32_e64 v4, null, 0, v4, s0
	v_cmp_le_i32_e64 s0, s18, v7
	v_add_co_u32 v5, s1, v5, s2
	v_add_co_ci_u32_e64 v6, null, s3, v6, s1
	s_or_b32 s10, s0, s10
	s_andn2_b32 exec_lo, exec_lo, s10
	s_cbranch_execz .LBB68_7
.LBB68_5:                               ; =>This Inner Loop Header: Depth=1
	s_mov_b32 s1, exec_lo
	v_cmpx_lt_i32_e64 s6, v7
	s_cbranch_execz .LBB68_4
; %bb.6:                                ;   in Loop: Header=BB68_5 Depth=1
	flat_load_dwordx2 v[8:9], v[3:4]
	flat_load_dwordx2 v[10:11], v[5:6]
	s_waitcnt vmcnt(0) lgkmcnt(0)
	v_fma_f64 v[1:2], v[8:9], v[10:11], v[1:2]
	s_branch .LBB68_4
.LBB68_7:
	s_inst_prefetch 0x2
	s_or_b32 exec_lo, exec_lo, s10
.LBB68_8:
	s_or_b32 exec_lo, exec_lo, s13
	v_and_b32_e32 v10, 31, v0
	v_cmp_gt_u32_e64 s0, 32, v0
	v_lshlrev_b32_e32 v5, 3, v10
	s_and_saveexec_b32 s1, s0
; %bb.9:
	v_mov_b32_e32 v3, 0
	v_mov_b32_e32 v4, v3
	ds_write_b64 v5, v[3:4]
; %bb.10:
	s_or_b32 exec_lo, exec_lo, s1
	v_mbcnt_lo_u32_b32 v9, -1, 0
	s_mov_b32 s2, exec_lo
	s_waitcnt lgkmcnt(0)
	s_barrier
	buffer_gl0_inv
	v_lshl_or_b32 v4, v9, 2, 64
	v_cmp_gt_u32_e64 s1, 24, v9
	ds_bpermute_b32 v3, v4, v1
	ds_bpermute_b32 v4, v4, v2
	s_waitcnt lgkmcnt(0)
	v_add_f64 v[1:2], v[1:2], v[3:4]
	v_cndmask_b32_e64 v3, 0, 8, s1
	v_cmp_gt_u32_e64 s1, 28, v9
	v_add_lshl_u32 v6, v3, v9, 2
	ds_bpermute_b32 v3, v6, v1
	ds_bpermute_b32 v4, v6, v2
	s_waitcnt lgkmcnt(0)
	v_add_f64 v[1:2], v[1:2], v[3:4]
	v_cndmask_b32_e64 v3, 0, 4, s1
	v_cmp_gt_u32_e64 s1, 30, v9
	v_add_lshl_u32 v7, v3, v9, 2
	ds_bpermute_b32 v3, v7, v1
	ds_bpermute_b32 v4, v7, v2
	s_waitcnt lgkmcnt(0)
	v_add_f64 v[1:2], v[1:2], v[3:4]
	v_cndmask_b32_e64 v3, 0, 2, s1
	v_cmp_ne_u32_e64 s1, 31, v9
	v_add_lshl_u32 v8, v3, v9, 2
	ds_bpermute_b32 v3, v8, v1
	ds_bpermute_b32 v4, v8, v2
	s_waitcnt lgkmcnt(0)
	v_add_f64 v[1:2], v[1:2], v[3:4]
	v_add_co_ci_u32_e64 v3, null, 0, v9, s1
	v_lshlrev_b32_e32 v9, 2, v3
	ds_bpermute_b32 v3, v9, v1
	ds_bpermute_b32 v4, v9, v2
	v_cmpx_eq_u32_e32 0, v10
	s_cbranch_execz .LBB68_12
; %bb.11:
	s_waitcnt lgkmcnt(0)
	v_add_f64 v[1:2], v[1:2], v[3:4]
	v_lshrrev_b32_e32 v3, 2, v0
	v_and_b32_e32 v3, 0x78, v3
	ds_write_b64 v3, v[1:2]
.LBB68_12:
	s_or_b32 exec_lo, exec_lo, s2
	v_mov_b32_e32 v1, 0
	v_mov_b32_e32 v2, 0
	s_mov_b32 s2, exec_lo
	s_waitcnt lgkmcnt(0)
	s_barrier
	buffer_gl0_inv
	v_cmpx_gt_u32_e32 16, v0
	s_cbranch_execnz .LBB68_16
; %bb.13:
	s_or_b32 exec_lo, exec_lo, s2
	s_and_saveexec_b32 s1, s0
	s_cbranch_execnz .LBB68_17
.LBB68_14:
	s_or_b32 exec_lo, exec_lo, s1
	s_and_saveexec_b32 s0, vcc_lo
	s_cbranch_execnz .LBB68_18
.LBB68_15:
	s_endpgm
.LBB68_16:
	ds_read_b64 v[1:2], v5
	s_or_b32 exec_lo, exec_lo, s2
	s_and_saveexec_b32 s1, s0
	s_cbranch_execz .LBB68_14
.LBB68_17:
	s_waitcnt lgkmcnt(0)
	ds_bpermute_b32 v3, v6, v1
	ds_bpermute_b32 v4, v6, v2
	s_waitcnt lgkmcnt(0)
	v_add_f64 v[0:1], v[1:2], v[3:4]
	ds_bpermute_b32 v2, v7, v0
	ds_bpermute_b32 v3, v7, v1
	s_waitcnt lgkmcnt(0)
	v_add_f64 v[0:1], v[0:1], v[2:3]
	;; [unrolled: 4-line block ×4, first 2 shown]
	s_or_b32 exec_lo, exec_lo, s1
	s_and_saveexec_b32 s0, vcc_lo
	s_cbranch_execz .LBB68_15
.LBB68_18:
	s_load_dwordx4 s[0:3], s[4:5], 0x48
	v_mov_b32_e32 v0, 0
	s_waitcnt lgkmcnt(0)
	s_mul_i32 s3, s3, s12
	s_mul_hi_u32 s4, s2, s12
	s_mul_i32 s2, s2, s12
	s_add_i32 s3, s4, s3
	s_lshl_b64 s[2:3], s[2:3], 3
	s_add_u32 s2, s0, s2
	s_addc_u32 s3, s1, s3
	s_lshl_b64 s[0:1], s[6:7], 3
	s_add_u32 s0, s2, s0
	s_addc_u32 s1, s3, s1
	global_store_dwordx2 v0, v[1:2], s[0:1]
	s_endpgm
	.section	.rodata,"a",@progbits
	.p2align	6, 0x0
	.amdhsa_kernel _ZL20rocblas_trmvt_kernelILi512ELb1ELb1ELb1EPKPKdPKPdS4_EviT3_lllT4_lllT5_li
		.amdhsa_group_segment_fixed_size 256
		.amdhsa_private_segment_fixed_size 0
		.amdhsa_kernarg_size 92
		.amdhsa_user_sgpr_count 6
		.amdhsa_user_sgpr_private_segment_buffer 1
		.amdhsa_user_sgpr_dispatch_ptr 0
		.amdhsa_user_sgpr_queue_ptr 0
		.amdhsa_user_sgpr_kernarg_segment_ptr 1
		.amdhsa_user_sgpr_dispatch_id 0
		.amdhsa_user_sgpr_flat_scratch_init 0
		.amdhsa_user_sgpr_private_segment_size 0
		.amdhsa_wavefront_size32 1
		.amdhsa_uses_dynamic_stack 0
		.amdhsa_system_sgpr_private_segment_wavefront_offset 0
		.amdhsa_system_sgpr_workgroup_id_x 1
		.amdhsa_system_sgpr_workgroup_id_y 0
		.amdhsa_system_sgpr_workgroup_id_z 1
		.amdhsa_system_sgpr_workgroup_info 0
		.amdhsa_system_vgpr_workitem_id 0
		.amdhsa_next_free_vgpr 12
		.amdhsa_next_free_sgpr 22
		.amdhsa_reserve_vcc 1
		.amdhsa_reserve_flat_scratch 0
		.amdhsa_float_round_mode_32 0
		.amdhsa_float_round_mode_16_64 0
		.amdhsa_float_denorm_mode_32 3
		.amdhsa_float_denorm_mode_16_64 3
		.amdhsa_dx10_clamp 1
		.amdhsa_ieee_mode 1
		.amdhsa_fp16_overflow 0
		.amdhsa_workgroup_processor_mode 1
		.amdhsa_memory_ordered 1
		.amdhsa_forward_progress 1
		.amdhsa_shared_vgpr_count 0
		.amdhsa_exception_fp_ieee_invalid_op 0
		.amdhsa_exception_fp_denorm_src 0
		.amdhsa_exception_fp_ieee_div_zero 0
		.amdhsa_exception_fp_ieee_overflow 0
		.amdhsa_exception_fp_ieee_underflow 0
		.amdhsa_exception_fp_ieee_inexact 0
		.amdhsa_exception_int_div_zero 0
	.end_amdhsa_kernel
	.section	.text._ZL20rocblas_trmvt_kernelILi512ELb1ELb1ELb1EPKPKdPKPdS4_EviT3_lllT4_lllT5_li,"axG",@progbits,_ZL20rocblas_trmvt_kernelILi512ELb1ELb1ELb1EPKPKdPKPdS4_EviT3_lllT4_lllT5_li,comdat
.Lfunc_end68:
	.size	_ZL20rocblas_trmvt_kernelILi512ELb1ELb1ELb1EPKPKdPKPdS4_EviT3_lllT4_lllT5_li, .Lfunc_end68-_ZL20rocblas_trmvt_kernelILi512ELb1ELb1ELb1EPKPKdPKPdS4_EviT3_lllT4_lllT5_li
                                        ; -- End function
	.set _ZL20rocblas_trmvt_kernelILi512ELb1ELb1ELb1EPKPKdPKPdS4_EviT3_lllT4_lllT5_li.num_vgpr, 12
	.set _ZL20rocblas_trmvt_kernelILi512ELb1ELb1ELb1EPKPKdPKPdS4_EviT3_lllT4_lllT5_li.num_agpr, 0
	.set _ZL20rocblas_trmvt_kernelILi512ELb1ELb1ELb1EPKPKdPKPdS4_EviT3_lllT4_lllT5_li.numbered_sgpr, 22
	.set _ZL20rocblas_trmvt_kernelILi512ELb1ELb1ELb1EPKPKdPKPdS4_EviT3_lllT4_lllT5_li.num_named_barrier, 0
	.set _ZL20rocblas_trmvt_kernelILi512ELb1ELb1ELb1EPKPKdPKPdS4_EviT3_lllT4_lllT5_li.private_seg_size, 0
	.set _ZL20rocblas_trmvt_kernelILi512ELb1ELb1ELb1EPKPKdPKPdS4_EviT3_lllT4_lllT5_li.uses_vcc, 1
	.set _ZL20rocblas_trmvt_kernelILi512ELb1ELb1ELb1EPKPKdPKPdS4_EviT3_lllT4_lllT5_li.uses_flat_scratch, 0
	.set _ZL20rocblas_trmvt_kernelILi512ELb1ELb1ELb1EPKPKdPKPdS4_EviT3_lllT4_lllT5_li.has_dyn_sized_stack, 0
	.set _ZL20rocblas_trmvt_kernelILi512ELb1ELb1ELb1EPKPKdPKPdS4_EviT3_lllT4_lllT5_li.has_recursion, 0
	.set _ZL20rocblas_trmvt_kernelILi512ELb1ELb1ELb1EPKPKdPKPdS4_EviT3_lllT4_lllT5_li.has_indirect_call, 0
	.section	.AMDGPU.csdata,"",@progbits
; Kernel info:
; codeLenInByte = 1132
; TotalNumSgprs: 24
; NumVgprs: 12
; ScratchSize: 0
; MemoryBound: 1
; FloatMode: 240
; IeeeMode: 1
; LDSByteSize: 256 bytes/workgroup (compile time only)
; SGPRBlocks: 0
; VGPRBlocks: 1
; NumSGPRsForWavesPerEU: 24
; NumVGPRsForWavesPerEU: 12
; Occupancy: 16
; WaveLimiterHint : 1
; COMPUTE_PGM_RSRC2:SCRATCH_EN: 0
; COMPUTE_PGM_RSRC2:USER_SGPR: 6
; COMPUTE_PGM_RSRC2:TRAP_HANDLER: 0
; COMPUTE_PGM_RSRC2:TGID_X_EN: 1
; COMPUTE_PGM_RSRC2:TGID_Y_EN: 0
; COMPUTE_PGM_RSRC2:TGID_Z_EN: 1
; COMPUTE_PGM_RSRC2:TIDIG_COMP_CNT: 0
	.section	.text._ZL20rocblas_trmvn_kernelILi64ELi16ELb1ELb0EPKPKdPKPdS4_EviT3_lllT4_lllT5_li,"axG",@progbits,_ZL20rocblas_trmvn_kernelILi64ELi16ELb1ELb0EPKPKdPKPdS4_EviT3_lllT4_lllT5_li,comdat
	.globl	_ZL20rocblas_trmvn_kernelILi64ELi16ELb1ELb0EPKPKdPKPdS4_EviT3_lllT4_lllT5_li ; -- Begin function _ZL20rocblas_trmvn_kernelILi64ELi16ELb1ELb0EPKPKdPKPdS4_EviT3_lllT4_lllT5_li
	.p2align	8
	.type	_ZL20rocblas_trmvn_kernelILi64ELi16ELb1ELb0EPKPKdPKPdS4_EviT3_lllT4_lllT5_li,@function
_ZL20rocblas_trmvn_kernelILi64ELi16ELb1ELb0EPKPKdPKPdS4_EviT3_lllT4_lllT5_li: ; @_ZL20rocblas_trmvn_kernelILi64ELi16ELb1ELb0EPKPKdPKPdS4_EviT3_lllT4_lllT5_li
; %bb.0:
	s_clause 0x2
	s_load_dwordx4 s[0:3], s[4:5], 0x8
	s_load_dwordx4 s[8:11], s[4:5], 0x28
	s_load_dword s20, s[4:5], 0x0
	s_mov_b32 s12, s7
	s_mov_b32 s13, 0
	s_clause 0x1
	s_load_dwordx2 s[14:15], s[4:5], 0x18
	s_load_dwordx2 s[16:17], s[4:5], 0x38
	s_lshl_b64 s[18:19], s[12:13], 3
	v_lshl_add_u32 v2, s6, 6, v0
	v_mov_b32_e32 v4, 0
	v_mov_b32_e32 v5, 0
	s_waitcnt lgkmcnt(0)
	s_add_u32 s0, s0, s18
	s_addc_u32 s1, s1, s19
	s_add_u32 s18, s8, s18
	s_addc_u32 s19, s9, s19
	s_load_dwordx2 s[8:9], s[0:1], 0x0
	s_load_dwordx2 s[18:19], s[18:19], 0x0
	v_cmp_eq_u32_e64 s0, 0, v1
	v_cmp_gt_i32_e32 vcc_lo, s20, v2
	s_and_b32 s0, s0, vcc_lo
	s_and_saveexec_b32 s1, s0
	s_cbranch_execz .LBB69_2
; %bb.1:
	v_ashrrev_i32_e32 v3, 31, v2
	v_mul_lo_u32 v8, v2, s15
	v_mul_lo_u32 v10, s17, v2
	v_mad_u64_u32 v[6:7], null, s16, v2, 0
	v_mul_lo_u32 v9, v3, s14
	v_mad_u64_u32 v[4:5], null, v2, s14, v[2:3]
	v_mul_lo_u32 v3, s16, v3
	s_lshl_b64 s[6:7], s[2:3], 3
	s_waitcnt lgkmcnt(0)
	s_add_u32 s0, s8, s6
	s_addc_u32 s13, s9, s7
	s_lshl_b64 s[6:7], s[10:11], 3
	v_add3_u32 v5, v9, v5, v8
	s_add_u32 s6, s18, s6
	v_add3_u32 v7, v7, v3, v10
	s_addc_u32 s7, s19, s7
	v_lshlrev_b64 v[3:4], 3, v[4:5]
	v_lshlrev_b64 v[5:6], 3, v[6:7]
	v_add_co_u32 v3, s0, s0, v3
	v_add_co_ci_u32_e64 v4, null, s13, v4, s0
	v_add_co_u32 v5, s0, s6, v5
	v_add_co_ci_u32_e64 v6, null, s7, v6, s0
	flat_load_dwordx2 v[3:4], v[3:4]
	flat_load_dwordx2 v[5:6], v[5:6]
	s_waitcnt vmcnt(0) lgkmcnt(0)
	v_mul_f64 v[4:5], v[3:4], v[5:6]
.LBB69_2:
	s_or_b32 exec_lo, exec_lo, s1
	s_load_dword s13, s[4:5], 0x6c
	s_mov_b32 s21, exec_lo
	v_cmpx_gt_i32_e64 s20, v1
	s_cbranch_execz .LBB69_8
; %bb.3:
	v_mad_u64_u32 v[6:7], null, s14, v1, 0
	v_mad_u64_u32 v[8:9], null, s16, v1, 0
	s_lshl_b64 s[0:1], s[10:11], 3
	s_waitcnt lgkmcnt(0)
	s_add_u32 s6, s18, s0
	s_addc_u32 s7, s19, s1
	v_mov_b32_e32 v3, v7
	s_lshl_b64 s[0:1], s[2:3], 3
	s_lshl_b64 s[2:3], s[16:17], 7
	v_mad_u64_u32 v[10:11], null, s15, v1, v[3:4]
	v_mov_b32_e32 v3, v9
	v_mov_b32_e32 v7, v10
	v_mad_u64_u32 v[9:10], null, s17, v1, v[3:4]
	v_ashrrev_i32_e32 v3, 31, v2
	v_lshlrev_b64 v[6:7], 3, v[6:7]
	v_lshlrev_b64 v[10:11], 3, v[2:3]
	v_add_co_u32 v3, s0, v6, s0
	v_add_co_ci_u32_e64 v12, null, s1, v7, s0
	v_lshlrev_b64 v[6:7], 3, v[8:9]
	v_add_co_u32 v3, s0, v3, v10
	v_add_co_ci_u32_e64 v9, null, v12, v11, s0
	v_add_co_u32 v6, s0, s6, v6
	v_add_co_ci_u32_e64 v7, null, s7, v7, s0
	;; [unrolled: 2-line block ×3, first 2 shown]
	v_mov_b32_e32 v3, v1
	s_lshl_b64 s[6:7], s[14:15], 7
	s_mov_b32 s8, 0
	s_inst_prefetch 0x1
	s_branch .LBB69_5
	.p2align	6
.LBB69_4:                               ;   in Loop: Header=BB69_5 Depth=1
	s_or_b32 exec_lo, exec_lo, s0
	v_add_nc_u32_e32 v3, 16, v3
	v_add_co_u32 v6, s0, v6, s2
	v_add_co_ci_u32_e64 v7, null, s3, v7, s0
	v_cmp_le_i32_e64 s0, s20, v3
	v_add_co_u32 v8, s1, v8, s6
	v_add_co_ci_u32_e64 v9, null, s7, v9, s1
	s_or_b32 s8, s0, s8
	s_andn2_b32 exec_lo, exec_lo, s8
	s_cbranch_execz .LBB69_7
.LBB69_5:                               ; =>This Inner Loop Header: Depth=1
	v_cmp_lt_i32_e64 s0, v3, v2
	s_and_b32 s1, vcc_lo, s0
	s_and_saveexec_b32 s0, s1
	s_cbranch_execz .LBB69_4
; %bb.6:                                ;   in Loop: Header=BB69_5 Depth=1
	flat_load_dwordx2 v[10:11], v[8:9]
	flat_load_dwordx2 v[12:13], v[6:7]
	s_waitcnt vmcnt(0) lgkmcnt(0)
	v_fma_f64 v[4:5], v[10:11], v[12:13], v[4:5]
	s_branch .LBB69_4
.LBB69_7:
	s_inst_prefetch 0x2
	s_or_b32 exec_lo, exec_lo, s8
.LBB69_8:
	s_or_b32 exec_lo, exec_lo, s21
	v_lshlrev_b32_e32 v3, 3, v0
	s_waitcnt lgkmcnt(0)
	s_and_b32 s1, 0xffff, s13
	s_mov_b32 s2, exec_lo
	v_mad_u32_u24 v0, v1, s1, v0
	v_lshl_add_u32 v6, v1, 9, v3
	ds_write_b64 v6, v[4:5]
	s_waitcnt lgkmcnt(0)
	s_barrier
	buffer_gl0_inv
	v_cmpx_gt_u32_e32 64, v0
	s_cbranch_execz .LBB69_11
; %bb.9:
	v_mul_u32_u24_e32 v0, s1, v1
	v_lshl_add_u32 v11, v0, 3, v3
	ds_read2st64_b64 v[3:6], v11 offset1:1
	ds_read2st64_b64 v[7:10], v11 offset0:2 offset1:3
	s_waitcnt lgkmcnt(1)
	v_add_f64 v[0:1], v[3:4], v[5:6]
	s_waitcnt lgkmcnt(0)
	v_add_f64 v[0:1], v[7:8], v[0:1]
	v_add_f64 v[0:1], v[9:10], v[0:1]
	ds_read2st64_b64 v[3:6], v11 offset0:4 offset1:5
	ds_read2st64_b64 v[7:10], v11 offset0:6 offset1:7
	s_waitcnt lgkmcnt(1)
	v_add_f64 v[0:1], v[3:4], v[0:1]
	v_add_f64 v[0:1], v[5:6], v[0:1]
	s_waitcnt lgkmcnt(0)
	v_add_f64 v[0:1], v[7:8], v[0:1]
	v_add_f64 v[0:1], v[9:10], v[0:1]
	ds_read2st64_b64 v[3:6], v11 offset0:8 offset1:9
	ds_read2st64_b64 v[7:10], v11 offset0:10 offset1:11
	s_waitcnt lgkmcnt(1)
	v_add_f64 v[0:1], v[3:4], v[0:1]
	;; [unrolled: 8-line block ×3, first 2 shown]
	v_add_f64 v[0:1], v[5:6], v[0:1]
	s_waitcnt lgkmcnt(0)
	v_add_f64 v[0:1], v[7:8], v[0:1]
	v_add_f64 v[0:1], v[9:10], v[0:1]
	ds_write_b64 v11, v[0:1]
	s_and_b32 exec_lo, exec_lo, vcc_lo
	s_cbranch_execz .LBB69_11
; %bb.10:
	s_load_dwordx4 s[0:3], s[4:5], 0x48
	v_ashrrev_i32_e32 v3, 31, v2
	v_lshlrev_b64 v[2:3], 3, v[2:3]
	s_waitcnt lgkmcnt(0)
	s_mul_i32 s3, s3, s12
	s_mul_hi_u32 s4, s2, s12
	s_mul_i32 s2, s2, s12
	s_add_i32 s3, s4, s3
	s_lshl_b64 s[2:3], s[2:3], 3
	s_add_u32 s0, s0, s2
	s_addc_u32 s1, s1, s3
	v_add_co_u32 v2, vcc_lo, s0, v2
	v_add_co_ci_u32_e64 v3, null, s1, v3, vcc_lo
	global_store_dwordx2 v[2:3], v[0:1], off
.LBB69_11:
	s_endpgm
	.section	.rodata,"a",@progbits
	.p2align	6, 0x0
	.amdhsa_kernel _ZL20rocblas_trmvn_kernelILi64ELi16ELb1ELb0EPKPKdPKPdS4_EviT3_lllT4_lllT5_li
		.amdhsa_group_segment_fixed_size 8192
		.amdhsa_private_segment_fixed_size 0
		.amdhsa_kernarg_size 352
		.amdhsa_user_sgpr_count 6
		.amdhsa_user_sgpr_private_segment_buffer 1
		.amdhsa_user_sgpr_dispatch_ptr 0
		.amdhsa_user_sgpr_queue_ptr 0
		.amdhsa_user_sgpr_kernarg_segment_ptr 1
		.amdhsa_user_sgpr_dispatch_id 0
		.amdhsa_user_sgpr_flat_scratch_init 0
		.amdhsa_user_sgpr_private_segment_size 0
		.amdhsa_wavefront_size32 1
		.amdhsa_uses_dynamic_stack 0
		.amdhsa_system_sgpr_private_segment_wavefront_offset 0
		.amdhsa_system_sgpr_workgroup_id_x 1
		.amdhsa_system_sgpr_workgroup_id_y 0
		.amdhsa_system_sgpr_workgroup_id_z 1
		.amdhsa_system_sgpr_workgroup_info 0
		.amdhsa_system_vgpr_workitem_id 1
		.amdhsa_next_free_vgpr 14
		.amdhsa_next_free_sgpr 22
		.amdhsa_reserve_vcc 1
		.amdhsa_reserve_flat_scratch 0
		.amdhsa_float_round_mode_32 0
		.amdhsa_float_round_mode_16_64 0
		.amdhsa_float_denorm_mode_32 3
		.amdhsa_float_denorm_mode_16_64 3
		.amdhsa_dx10_clamp 1
		.amdhsa_ieee_mode 1
		.amdhsa_fp16_overflow 0
		.amdhsa_workgroup_processor_mode 1
		.amdhsa_memory_ordered 1
		.amdhsa_forward_progress 1
		.amdhsa_shared_vgpr_count 0
		.amdhsa_exception_fp_ieee_invalid_op 0
		.amdhsa_exception_fp_denorm_src 0
		.amdhsa_exception_fp_ieee_div_zero 0
		.amdhsa_exception_fp_ieee_overflow 0
		.amdhsa_exception_fp_ieee_underflow 0
		.amdhsa_exception_fp_ieee_inexact 0
		.amdhsa_exception_int_div_zero 0
	.end_amdhsa_kernel
	.section	.text._ZL20rocblas_trmvn_kernelILi64ELi16ELb1ELb0EPKPKdPKPdS4_EviT3_lllT4_lllT5_li,"axG",@progbits,_ZL20rocblas_trmvn_kernelILi64ELi16ELb1ELb0EPKPKdPKPdS4_EviT3_lllT4_lllT5_li,comdat
.Lfunc_end69:
	.size	_ZL20rocblas_trmvn_kernelILi64ELi16ELb1ELb0EPKPKdPKPdS4_EviT3_lllT4_lllT5_li, .Lfunc_end69-_ZL20rocblas_trmvn_kernelILi64ELi16ELb1ELb0EPKPKdPKPdS4_EviT3_lllT4_lllT5_li
                                        ; -- End function
	.set _ZL20rocblas_trmvn_kernelILi64ELi16ELb1ELb0EPKPKdPKPdS4_EviT3_lllT4_lllT5_li.num_vgpr, 14
	.set _ZL20rocblas_trmvn_kernelILi64ELi16ELb1ELb0EPKPKdPKPdS4_EviT3_lllT4_lllT5_li.num_agpr, 0
	.set _ZL20rocblas_trmvn_kernelILi64ELi16ELb1ELb0EPKPKdPKPdS4_EviT3_lllT4_lllT5_li.numbered_sgpr, 22
	.set _ZL20rocblas_trmvn_kernelILi64ELi16ELb1ELb0EPKPKdPKPdS4_EviT3_lllT4_lllT5_li.num_named_barrier, 0
	.set _ZL20rocblas_trmvn_kernelILi64ELi16ELb1ELb0EPKPKdPKPdS4_EviT3_lllT4_lllT5_li.private_seg_size, 0
	.set _ZL20rocblas_trmvn_kernelILi64ELi16ELb1ELb0EPKPKdPKPdS4_EviT3_lllT4_lllT5_li.uses_vcc, 1
	.set _ZL20rocblas_trmvn_kernelILi64ELi16ELb1ELb0EPKPKdPKPdS4_EviT3_lllT4_lllT5_li.uses_flat_scratch, 0
	.set _ZL20rocblas_trmvn_kernelILi64ELi16ELb1ELb0EPKPKdPKPdS4_EviT3_lllT4_lllT5_li.has_dyn_sized_stack, 0
	.set _ZL20rocblas_trmvn_kernelILi64ELi16ELb1ELb0EPKPKdPKPdS4_EviT3_lllT4_lllT5_li.has_recursion, 0
	.set _ZL20rocblas_trmvn_kernelILi64ELi16ELb1ELb0EPKPKdPKPdS4_EviT3_lllT4_lllT5_li.has_indirect_call, 0
	.section	.AMDGPU.csdata,"",@progbits
; Kernel info:
; codeLenInByte = 1092
; TotalNumSgprs: 24
; NumVgprs: 14
; ScratchSize: 0
; MemoryBound: 1
; FloatMode: 240
; IeeeMode: 1
; LDSByteSize: 8192 bytes/workgroup (compile time only)
; SGPRBlocks: 0
; VGPRBlocks: 1
; NumSGPRsForWavesPerEU: 24
; NumVGPRsForWavesPerEU: 14
; Occupancy: 16
; WaveLimiterHint : 1
; COMPUTE_PGM_RSRC2:SCRATCH_EN: 0
; COMPUTE_PGM_RSRC2:USER_SGPR: 6
; COMPUTE_PGM_RSRC2:TRAP_HANDLER: 0
; COMPUTE_PGM_RSRC2:TGID_X_EN: 1
; COMPUTE_PGM_RSRC2:TGID_Y_EN: 0
; COMPUTE_PGM_RSRC2:TGID_Z_EN: 1
; COMPUTE_PGM_RSRC2:TIDIG_COMP_CNT: 1
	.section	.text._ZL20rocblas_trmvt_kernelILi512ELb1ELb0ELb0EPKPKdPKPdS4_EviT3_lllT4_lllT5_li,"axG",@progbits,_ZL20rocblas_trmvt_kernelILi512ELb1ELb0ELb0EPKPKdPKPdS4_EviT3_lllT4_lllT5_li,comdat
	.globl	_ZL20rocblas_trmvt_kernelILi512ELb1ELb0ELb0EPKPKdPKPdS4_EviT3_lllT4_lllT5_li ; -- Begin function _ZL20rocblas_trmvt_kernelILi512ELb1ELb0ELb0EPKPKdPKPdS4_EviT3_lllT4_lllT5_li
	.p2align	8
	.type	_ZL20rocblas_trmvt_kernelILi512ELb1ELb0ELb0EPKPKdPKPdS4_EviT3_lllT4_lllT5_li,@function
_ZL20rocblas_trmvt_kernelILi512ELb1ELb0ELb0EPKPKdPKPdS4_EviT3_lllT4_lllT5_li: ; @_ZL20rocblas_trmvt_kernelILi512ELb1ELb0ELb0EPKPKdPKPdS4_EviT3_lllT4_lllT5_li
; %bb.0:
	s_clause 0x1
	s_load_dwordx4 s[16:19], s[4:5], 0x8
	s_load_dword s14, s[4:5], 0x0
	s_mov_b32 s2, s7
	s_mov_b32 s3, 0
	s_load_dwordx2 s[22:23], s[4:5], 0x18
	s_lshl_b64 s[20:21], s[2:3], 3
	v_mov_b32_e32 v3, 0
	v_mov_b32_e32 v4, 0
	s_waitcnt lgkmcnt(0)
	s_add_u32 s0, s16, s20
	s_addc_u32 s1, s17, s21
	s_lshl_b64 s[18:19], s[18:19], 3
	s_load_dwordx2 s[16:17], s[0:1], 0x0
	s_clause 0x1
	s_load_dwordx4 s[8:11], s[4:5], 0x28
	s_load_dwordx2 s[12:13], s[4:5], 0x38
	v_cmp_gt_i32_e64 s0, s14, v0
	s_mul_hi_u32 s1, s22, s6
	s_mul_i32 s3, s23, s6
	v_cndmask_b32_e64 v1, 0, v0, s0
	v_lshlrev_b32_e32 v1, 3, v1
	s_waitcnt lgkmcnt(0)
	s_add_u32 s15, s16, s18
	s_addc_u32 s18, s17, s19
	s_add_u32 s8, s8, s20
	s_addc_u32 s9, s9, s21
	s_ashr_i32 s7, s6, 31
	s_load_dwordx2 s[8:9], s[8:9], 0x0
	s_mul_i32 s16, s22, s7
	s_add_i32 s1, s1, s16
	s_mul_i32 s16, s22, s6
	s_add_i32 s17, s1, s3
	v_add_co_u32 v1, s1, s15, v1
	v_add_co_ci_u32_e64 v2, null, s18, 0, s1
	s_lshl_b64 s[16:17], s[16:17], 3
	v_add_co_u32 v1, vcc_lo, v1, s16
	v_add_co_ci_u32_e64 v2, null, s17, v2, vcc_lo
	v_cmp_eq_u32_e32 vcc_lo, 0, v0
	s_and_saveexec_b32 s3, vcc_lo
	s_cbranch_execz .LBB70_2
; %bb.1:
	s_lshl_b64 s[16:17], s[10:11], 3
	s_mul_i32 s1, s12, s7
	s_waitcnt lgkmcnt(0)
	s_add_u32 s15, s8, s16
	s_mul_hi_u32 s16, s12, s6
	s_addc_u32 s20, s9, s17
	s_add_i32 s1, s16, s1
	s_mul_i32 s16, s13, s6
	s_lshl_b64 s[18:19], s[6:7], 3
	s_add_i32 s17, s1, s16
	s_mul_i32 s16, s12, s6
	v_add_co_u32 v3, s1, v1, s18
	s_lshl_b64 s[16:17], s[16:17], 3
	v_add_co_ci_u32_e64 v4, null, s19, v2, s1
	s_add_u32 s16, s15, s16
	s_addc_u32 s17, s20, s17
	v_mov_b32_e32 v5, s16
	v_mov_b32_e32 v6, s17
	flat_load_dwordx2 v[3:4], v[3:4]
	flat_load_dwordx2 v[5:6], v[5:6]
	s_waitcnt vmcnt(0) lgkmcnt(0)
	v_fma_f64 v[3:4], v[3:4], v[5:6], 0
.LBB70_2:
	s_or_b32 exec_lo, exec_lo, s3
	s_and_saveexec_b32 s3, s0
	s_cbranch_execz .LBB70_8
; %bb.3:
	v_mad_u64_u32 v[5:6], null, s12, v0, 0
	s_lshl_b64 s[0:1], s[10:11], 3
	s_mov_b32 s10, 0
	s_waitcnt lgkmcnt(0)
	s_add_u32 s0, s8, s0
	s_addc_u32 s1, s9, s1
	s_lshl_b64 s[8:9], s[12:13], 12
	v_mad_u64_u32 v[6:7], null, s13, v0, v[6:7]
	v_mov_b32_e32 v7, v0
	v_lshlrev_b64 v[5:6], 3, v[5:6]
	v_add_co_u32 v5, s0, s0, v5
	v_add_co_ci_u32_e64 v6, null, s1, v6, s0
	s_inst_prefetch 0x1
	s_branch .LBB70_5
	.p2align	6
.LBB70_4:                               ;   in Loop: Header=BB70_5 Depth=1
	s_or_b32 exec_lo, exec_lo, s1
	v_add_nc_u32_e32 v7, 0x200, v7
	v_add_co_u32 v1, s0, 0x1000, v1
	v_add_co_ci_u32_e64 v2, null, 0, v2, s0
	v_cmp_le_i32_e64 s0, s14, v7
	v_add_co_u32 v5, s1, v5, s8
	v_add_co_ci_u32_e64 v6, null, s9, v6, s1
	s_or_b32 s10, s0, s10
	s_andn2_b32 exec_lo, exec_lo, s10
	s_cbranch_execz .LBB70_7
.LBB70_5:                               ; =>This Inner Loop Header: Depth=1
	s_mov_b32 s1, exec_lo
	v_cmpx_lt_i32_e64 s6, v7
	s_cbranch_execz .LBB70_4
; %bb.6:                                ;   in Loop: Header=BB70_5 Depth=1
	flat_load_dwordx2 v[8:9], v[1:2]
	flat_load_dwordx2 v[10:11], v[5:6]
	s_waitcnt vmcnt(0) lgkmcnt(0)
	v_fma_f64 v[3:4], v[8:9], v[10:11], v[3:4]
	s_branch .LBB70_4
.LBB70_7:
	s_inst_prefetch 0x2
	s_or_b32 exec_lo, exec_lo, s10
.LBB70_8:
	s_or_b32 exec_lo, exec_lo, s3
	v_and_b32_e32 v10, 31, v0
	v_cmp_gt_u32_e64 s0, 32, v0
	v_lshlrev_b32_e32 v5, 3, v10
	s_and_saveexec_b32 s1, s0
; %bb.9:
	v_mov_b32_e32 v1, 0
	v_mov_b32_e32 v2, v1
	ds_write_b64 v5, v[1:2]
; %bb.10:
	s_or_b32 exec_lo, exec_lo, s1
	v_mbcnt_lo_u32_b32 v9, -1, 0
	s_mov_b32 s3, exec_lo
	s_waitcnt lgkmcnt(0)
	s_barrier
	buffer_gl0_inv
	v_lshl_or_b32 v2, v9, 2, 64
	v_cmp_gt_u32_e64 s1, 24, v9
	ds_bpermute_b32 v1, v2, v3
	ds_bpermute_b32 v2, v2, v4
	s_waitcnt lgkmcnt(0)
	v_add_f64 v[1:2], v[3:4], v[1:2]
	v_cndmask_b32_e64 v3, 0, 8, s1
	v_cmp_gt_u32_e64 s1, 28, v9
	v_add_lshl_u32 v6, v3, v9, 2
	ds_bpermute_b32 v3, v6, v1
	ds_bpermute_b32 v4, v6, v2
	s_waitcnt lgkmcnt(0)
	v_add_f64 v[1:2], v[1:2], v[3:4]
	v_cndmask_b32_e64 v3, 0, 4, s1
	v_cmp_gt_u32_e64 s1, 30, v9
	v_add_lshl_u32 v7, v3, v9, 2
	ds_bpermute_b32 v3, v7, v1
	ds_bpermute_b32 v4, v7, v2
	s_waitcnt lgkmcnt(0)
	v_add_f64 v[1:2], v[1:2], v[3:4]
	v_cndmask_b32_e64 v3, 0, 2, s1
	v_cmp_ne_u32_e64 s1, 31, v9
	v_add_lshl_u32 v8, v3, v9, 2
	ds_bpermute_b32 v3, v8, v1
	ds_bpermute_b32 v4, v8, v2
	s_waitcnt lgkmcnt(0)
	v_add_f64 v[1:2], v[1:2], v[3:4]
	v_add_co_ci_u32_e64 v3, null, 0, v9, s1
	v_lshlrev_b32_e32 v9, 2, v3
	ds_bpermute_b32 v3, v9, v1
	ds_bpermute_b32 v4, v9, v2
	v_cmpx_eq_u32_e32 0, v10
	s_cbranch_execz .LBB70_12
; %bb.11:
	s_waitcnt lgkmcnt(0)
	v_add_f64 v[1:2], v[1:2], v[3:4]
	v_lshrrev_b32_e32 v3, 2, v0
	v_and_b32_e32 v3, 0x78, v3
	ds_write_b64 v3, v[1:2]
.LBB70_12:
	s_or_b32 exec_lo, exec_lo, s3
	v_mov_b32_e32 v1, 0
	v_mov_b32_e32 v2, 0
	s_mov_b32 s3, exec_lo
	s_waitcnt lgkmcnt(0)
	s_barrier
	buffer_gl0_inv
	v_cmpx_gt_u32_e32 16, v0
	s_cbranch_execnz .LBB70_16
; %bb.13:
	s_or_b32 exec_lo, exec_lo, s3
	s_and_saveexec_b32 s1, s0
	s_cbranch_execnz .LBB70_17
.LBB70_14:
	s_or_b32 exec_lo, exec_lo, s1
	s_and_saveexec_b32 s0, vcc_lo
	s_cbranch_execnz .LBB70_18
.LBB70_15:
	s_endpgm
.LBB70_16:
	ds_read_b64 v[1:2], v5
	s_or_b32 exec_lo, exec_lo, s3
	s_and_saveexec_b32 s1, s0
	s_cbranch_execz .LBB70_14
.LBB70_17:
	s_waitcnt lgkmcnt(0)
	ds_bpermute_b32 v3, v6, v1
	ds_bpermute_b32 v4, v6, v2
	s_waitcnt lgkmcnt(0)
	v_add_f64 v[0:1], v[1:2], v[3:4]
	ds_bpermute_b32 v2, v7, v0
	ds_bpermute_b32 v3, v7, v1
	s_waitcnt lgkmcnt(0)
	v_add_f64 v[0:1], v[0:1], v[2:3]
	;; [unrolled: 4-line block ×4, first 2 shown]
	s_or_b32 exec_lo, exec_lo, s1
	s_and_saveexec_b32 s0, vcc_lo
	s_cbranch_execz .LBB70_15
.LBB70_18:
	s_load_dwordx4 s[8:11], s[4:5], 0x48
	v_mov_b32_e32 v0, 0
	s_waitcnt lgkmcnt(0)
	s_mul_i32 s1, s11, s2
	s_mul_hi_u32 s3, s10, s2
	s_mul_i32 s0, s10, s2
	s_add_i32 s1, s3, s1
	s_lshl_b64 s[0:1], s[0:1], 3
	s_add_u32 s2, s8, s0
	s_addc_u32 s3, s9, s1
	s_lshl_b64 s[0:1], s[6:7], 3
	s_add_u32 s0, s2, s0
	s_addc_u32 s1, s3, s1
	global_store_dwordx2 v0, v[1:2], s[0:1]
	s_endpgm
	.section	.rodata,"a",@progbits
	.p2align	6, 0x0
	.amdhsa_kernel _ZL20rocblas_trmvt_kernelILi512ELb1ELb0ELb0EPKPKdPKPdS4_EviT3_lllT4_lllT5_li
		.amdhsa_group_segment_fixed_size 256
		.amdhsa_private_segment_fixed_size 0
		.amdhsa_kernarg_size 92
		.amdhsa_user_sgpr_count 6
		.amdhsa_user_sgpr_private_segment_buffer 1
		.amdhsa_user_sgpr_dispatch_ptr 0
		.amdhsa_user_sgpr_queue_ptr 0
		.amdhsa_user_sgpr_kernarg_segment_ptr 1
		.amdhsa_user_sgpr_dispatch_id 0
		.amdhsa_user_sgpr_flat_scratch_init 0
		.amdhsa_user_sgpr_private_segment_size 0
		.amdhsa_wavefront_size32 1
		.amdhsa_uses_dynamic_stack 0
		.amdhsa_system_sgpr_private_segment_wavefront_offset 0
		.amdhsa_system_sgpr_workgroup_id_x 1
		.amdhsa_system_sgpr_workgroup_id_y 0
		.amdhsa_system_sgpr_workgroup_id_z 1
		.amdhsa_system_sgpr_workgroup_info 0
		.amdhsa_system_vgpr_workitem_id 0
		.amdhsa_next_free_vgpr 12
		.amdhsa_next_free_sgpr 24
		.amdhsa_reserve_vcc 1
		.amdhsa_reserve_flat_scratch 0
		.amdhsa_float_round_mode_32 0
		.amdhsa_float_round_mode_16_64 0
		.amdhsa_float_denorm_mode_32 3
		.amdhsa_float_denorm_mode_16_64 3
		.amdhsa_dx10_clamp 1
		.amdhsa_ieee_mode 1
		.amdhsa_fp16_overflow 0
		.amdhsa_workgroup_processor_mode 1
		.amdhsa_memory_ordered 1
		.amdhsa_forward_progress 1
		.amdhsa_shared_vgpr_count 0
		.amdhsa_exception_fp_ieee_invalid_op 0
		.amdhsa_exception_fp_denorm_src 0
		.amdhsa_exception_fp_ieee_div_zero 0
		.amdhsa_exception_fp_ieee_overflow 0
		.amdhsa_exception_fp_ieee_underflow 0
		.amdhsa_exception_fp_ieee_inexact 0
		.amdhsa_exception_int_div_zero 0
	.end_amdhsa_kernel
	.section	.text._ZL20rocblas_trmvt_kernelILi512ELb1ELb0ELb0EPKPKdPKPdS4_EviT3_lllT4_lllT5_li,"axG",@progbits,_ZL20rocblas_trmvt_kernelILi512ELb1ELb0ELb0EPKPKdPKPdS4_EviT3_lllT4_lllT5_li,comdat
.Lfunc_end70:
	.size	_ZL20rocblas_trmvt_kernelILi512ELb1ELb0ELb0EPKPKdPKPdS4_EviT3_lllT4_lllT5_li, .Lfunc_end70-_ZL20rocblas_trmvt_kernelILi512ELb1ELb0ELb0EPKPKdPKPdS4_EviT3_lllT4_lllT5_li
                                        ; -- End function
	.set _ZL20rocblas_trmvt_kernelILi512ELb1ELb0ELb0EPKPKdPKPdS4_EviT3_lllT4_lllT5_li.num_vgpr, 12
	.set _ZL20rocblas_trmvt_kernelILi512ELb1ELb0ELb0EPKPKdPKPdS4_EviT3_lllT4_lllT5_li.num_agpr, 0
	.set _ZL20rocblas_trmvt_kernelILi512ELb1ELb0ELb0EPKPKdPKPdS4_EviT3_lllT4_lllT5_li.numbered_sgpr, 24
	.set _ZL20rocblas_trmvt_kernelILi512ELb1ELb0ELb0EPKPKdPKPdS4_EviT3_lllT4_lllT5_li.num_named_barrier, 0
	.set _ZL20rocblas_trmvt_kernelILi512ELb1ELb0ELb0EPKPKdPKPdS4_EviT3_lllT4_lllT5_li.private_seg_size, 0
	.set _ZL20rocblas_trmvt_kernelILi512ELb1ELb0ELb0EPKPKdPKPdS4_EviT3_lllT4_lllT5_li.uses_vcc, 1
	.set _ZL20rocblas_trmvt_kernelILi512ELb1ELb0ELb0EPKPKdPKPdS4_EviT3_lllT4_lllT5_li.uses_flat_scratch, 0
	.set _ZL20rocblas_trmvt_kernelILi512ELb1ELb0ELb0EPKPKdPKPdS4_EviT3_lllT4_lllT5_li.has_dyn_sized_stack, 0
	.set _ZL20rocblas_trmvt_kernelILi512ELb1ELb0ELb0EPKPKdPKPdS4_EviT3_lllT4_lllT5_li.has_recursion, 0
	.set _ZL20rocblas_trmvt_kernelILi512ELb1ELb0ELb0EPKPKdPKPdS4_EviT3_lllT4_lllT5_li.has_indirect_call, 0
	.section	.AMDGPU.csdata,"",@progbits
; Kernel info:
; codeLenInByte = 1196
; TotalNumSgprs: 26
; NumVgprs: 12
; ScratchSize: 0
; MemoryBound: 1
; FloatMode: 240
; IeeeMode: 1
; LDSByteSize: 256 bytes/workgroup (compile time only)
; SGPRBlocks: 0
; VGPRBlocks: 1
; NumSGPRsForWavesPerEU: 26
; NumVGPRsForWavesPerEU: 12
; Occupancy: 16
; WaveLimiterHint : 1
; COMPUTE_PGM_RSRC2:SCRATCH_EN: 0
; COMPUTE_PGM_RSRC2:USER_SGPR: 6
; COMPUTE_PGM_RSRC2:TRAP_HANDLER: 0
; COMPUTE_PGM_RSRC2:TGID_X_EN: 1
; COMPUTE_PGM_RSRC2:TGID_Y_EN: 0
; COMPUTE_PGM_RSRC2:TGID_Z_EN: 1
; COMPUTE_PGM_RSRC2:TIDIG_COMP_CNT: 0
	.section	.text._ZL20rocblas_trmvt_kernelILi512ELb1ELb1ELb0EPKPKdPKPdS4_EviT3_lllT4_lllT5_li,"axG",@progbits,_ZL20rocblas_trmvt_kernelILi512ELb1ELb1ELb0EPKPKdPKPdS4_EviT3_lllT4_lllT5_li,comdat
	.globl	_ZL20rocblas_trmvt_kernelILi512ELb1ELb1ELb0EPKPKdPKPdS4_EviT3_lllT4_lllT5_li ; -- Begin function _ZL20rocblas_trmvt_kernelILi512ELb1ELb1ELb0EPKPKdPKPdS4_EviT3_lllT4_lllT5_li
	.p2align	8
	.type	_ZL20rocblas_trmvt_kernelILi512ELb1ELb1ELb0EPKPKdPKPdS4_EviT3_lllT4_lllT5_li,@function
_ZL20rocblas_trmvt_kernelILi512ELb1ELb1ELb0EPKPKdPKPdS4_EviT3_lllT4_lllT5_li: ; @_ZL20rocblas_trmvt_kernelILi512ELb1ELb1ELb0EPKPKdPKPdS4_EviT3_lllT4_lllT5_li
; %bb.0:
	s_clause 0x1
	s_load_dwordx4 s[16:19], s[4:5], 0x8
	s_load_dword s14, s[4:5], 0x0
	s_mov_b32 s2, s7
	s_mov_b32 s3, 0
	s_load_dwordx2 s[22:23], s[4:5], 0x18
	s_lshl_b64 s[20:21], s[2:3], 3
	v_mov_b32_e32 v3, 0
	v_mov_b32_e32 v4, 0
	s_waitcnt lgkmcnt(0)
	s_add_u32 s0, s16, s20
	s_addc_u32 s1, s17, s21
	s_lshl_b64 s[18:19], s[18:19], 3
	s_load_dwordx2 s[16:17], s[0:1], 0x0
	s_clause 0x1
	s_load_dwordx4 s[8:11], s[4:5], 0x28
	s_load_dwordx2 s[12:13], s[4:5], 0x38
	v_cmp_gt_i32_e64 s0, s14, v0
	s_mul_hi_u32 s1, s22, s6
	s_mul_i32 s3, s23, s6
	v_cndmask_b32_e64 v1, 0, v0, s0
	v_lshlrev_b32_e32 v1, 3, v1
	s_waitcnt lgkmcnt(0)
	s_add_u32 s15, s16, s18
	s_addc_u32 s18, s17, s19
	s_add_u32 s8, s8, s20
	s_addc_u32 s9, s9, s21
	s_ashr_i32 s7, s6, 31
	s_load_dwordx2 s[8:9], s[8:9], 0x0
	s_mul_i32 s16, s22, s7
	s_add_i32 s1, s1, s16
	s_mul_i32 s16, s22, s6
	s_add_i32 s17, s1, s3
	v_add_co_u32 v1, s1, s15, v1
	v_add_co_ci_u32_e64 v2, null, s18, 0, s1
	s_lshl_b64 s[16:17], s[16:17], 3
	v_add_co_u32 v1, vcc_lo, v1, s16
	v_add_co_ci_u32_e64 v2, null, s17, v2, vcc_lo
	v_cmp_eq_u32_e32 vcc_lo, 0, v0
	s_and_saveexec_b32 s3, vcc_lo
	s_cbranch_execz .LBB71_2
; %bb.1:
	s_lshl_b64 s[16:17], s[10:11], 3
	s_mul_i32 s1, s12, s7
	s_waitcnt lgkmcnt(0)
	s_add_u32 s15, s8, s16
	s_mul_hi_u32 s16, s12, s6
	s_addc_u32 s20, s9, s17
	s_add_i32 s1, s16, s1
	s_mul_i32 s16, s13, s6
	s_lshl_b64 s[18:19], s[6:7], 3
	s_add_i32 s17, s1, s16
	s_mul_i32 s16, s12, s6
	v_add_co_u32 v3, s1, v1, s18
	s_lshl_b64 s[16:17], s[16:17], 3
	v_add_co_ci_u32_e64 v4, null, s19, v2, s1
	s_add_u32 s16, s15, s16
	s_addc_u32 s17, s20, s17
	v_mov_b32_e32 v5, s16
	v_mov_b32_e32 v6, s17
	flat_load_dwordx2 v[3:4], v[3:4]
	flat_load_dwordx2 v[5:6], v[5:6]
	s_waitcnt vmcnt(0) lgkmcnt(0)
	v_fma_f64 v[3:4], v[3:4], v[5:6], 0
.LBB71_2:
	s_or_b32 exec_lo, exec_lo, s3
	s_and_saveexec_b32 s3, s0
	s_cbranch_execz .LBB71_8
; %bb.3:
	v_mad_u64_u32 v[5:6], null, s12, v0, 0
	s_lshl_b64 s[0:1], s[10:11], 3
	s_mov_b32 s10, 0
	s_waitcnt lgkmcnt(0)
	s_add_u32 s0, s8, s0
	s_addc_u32 s1, s9, s1
	s_lshl_b64 s[8:9], s[12:13], 12
	v_mad_u64_u32 v[6:7], null, s13, v0, v[6:7]
	v_mov_b32_e32 v7, v0
	v_lshlrev_b64 v[5:6], 3, v[5:6]
	v_add_co_u32 v5, s0, s0, v5
	v_add_co_ci_u32_e64 v6, null, s1, v6, s0
	s_inst_prefetch 0x1
	s_branch .LBB71_5
	.p2align	6
.LBB71_4:                               ;   in Loop: Header=BB71_5 Depth=1
	s_or_b32 exec_lo, exec_lo, s1
	v_add_nc_u32_e32 v7, 0x200, v7
	v_add_co_u32 v1, s0, 0x1000, v1
	v_add_co_ci_u32_e64 v2, null, 0, v2, s0
	v_cmp_le_i32_e64 s0, s14, v7
	v_add_co_u32 v5, s1, v5, s8
	v_add_co_ci_u32_e64 v6, null, s9, v6, s1
	s_or_b32 s10, s0, s10
	s_andn2_b32 exec_lo, exec_lo, s10
	s_cbranch_execz .LBB71_7
.LBB71_5:                               ; =>This Inner Loop Header: Depth=1
	s_mov_b32 s1, exec_lo
	v_cmpx_lt_i32_e64 s6, v7
	s_cbranch_execz .LBB71_4
; %bb.6:                                ;   in Loop: Header=BB71_5 Depth=1
	flat_load_dwordx2 v[8:9], v[1:2]
	flat_load_dwordx2 v[10:11], v[5:6]
	s_waitcnt vmcnt(0) lgkmcnt(0)
	v_fma_f64 v[3:4], v[8:9], v[10:11], v[3:4]
	s_branch .LBB71_4
.LBB71_7:
	s_inst_prefetch 0x2
	s_or_b32 exec_lo, exec_lo, s10
.LBB71_8:
	s_or_b32 exec_lo, exec_lo, s3
	v_and_b32_e32 v10, 31, v0
	v_cmp_gt_u32_e64 s0, 32, v0
	v_lshlrev_b32_e32 v5, 3, v10
	s_and_saveexec_b32 s1, s0
; %bb.9:
	v_mov_b32_e32 v1, 0
	v_mov_b32_e32 v2, v1
	ds_write_b64 v5, v[1:2]
; %bb.10:
	s_or_b32 exec_lo, exec_lo, s1
	v_mbcnt_lo_u32_b32 v9, -1, 0
	s_mov_b32 s3, exec_lo
	s_waitcnt lgkmcnt(0)
	s_barrier
	buffer_gl0_inv
	v_lshl_or_b32 v2, v9, 2, 64
	v_cmp_gt_u32_e64 s1, 24, v9
	ds_bpermute_b32 v1, v2, v3
	ds_bpermute_b32 v2, v2, v4
	s_waitcnt lgkmcnt(0)
	v_add_f64 v[1:2], v[3:4], v[1:2]
	v_cndmask_b32_e64 v3, 0, 8, s1
	v_cmp_gt_u32_e64 s1, 28, v9
	v_add_lshl_u32 v6, v3, v9, 2
	ds_bpermute_b32 v3, v6, v1
	ds_bpermute_b32 v4, v6, v2
	s_waitcnt lgkmcnt(0)
	v_add_f64 v[1:2], v[1:2], v[3:4]
	v_cndmask_b32_e64 v3, 0, 4, s1
	v_cmp_gt_u32_e64 s1, 30, v9
	v_add_lshl_u32 v7, v3, v9, 2
	ds_bpermute_b32 v3, v7, v1
	ds_bpermute_b32 v4, v7, v2
	s_waitcnt lgkmcnt(0)
	v_add_f64 v[1:2], v[1:2], v[3:4]
	v_cndmask_b32_e64 v3, 0, 2, s1
	v_cmp_ne_u32_e64 s1, 31, v9
	v_add_lshl_u32 v8, v3, v9, 2
	ds_bpermute_b32 v3, v8, v1
	ds_bpermute_b32 v4, v8, v2
	s_waitcnt lgkmcnt(0)
	v_add_f64 v[1:2], v[1:2], v[3:4]
	v_add_co_ci_u32_e64 v3, null, 0, v9, s1
	v_lshlrev_b32_e32 v9, 2, v3
	ds_bpermute_b32 v3, v9, v1
	ds_bpermute_b32 v4, v9, v2
	v_cmpx_eq_u32_e32 0, v10
	s_cbranch_execz .LBB71_12
; %bb.11:
	s_waitcnt lgkmcnt(0)
	v_add_f64 v[1:2], v[1:2], v[3:4]
	v_lshrrev_b32_e32 v3, 2, v0
	v_and_b32_e32 v3, 0x78, v3
	ds_write_b64 v3, v[1:2]
.LBB71_12:
	s_or_b32 exec_lo, exec_lo, s3
	v_mov_b32_e32 v1, 0
	v_mov_b32_e32 v2, 0
	s_mov_b32 s3, exec_lo
	s_waitcnt lgkmcnt(0)
	s_barrier
	buffer_gl0_inv
	v_cmpx_gt_u32_e32 16, v0
	s_cbranch_execnz .LBB71_16
; %bb.13:
	s_or_b32 exec_lo, exec_lo, s3
	s_and_saveexec_b32 s1, s0
	s_cbranch_execnz .LBB71_17
.LBB71_14:
	s_or_b32 exec_lo, exec_lo, s1
	s_and_saveexec_b32 s0, vcc_lo
	s_cbranch_execnz .LBB71_18
.LBB71_15:
	s_endpgm
.LBB71_16:
	ds_read_b64 v[1:2], v5
	s_or_b32 exec_lo, exec_lo, s3
	s_and_saveexec_b32 s1, s0
	s_cbranch_execz .LBB71_14
.LBB71_17:
	s_waitcnt lgkmcnt(0)
	ds_bpermute_b32 v3, v6, v1
	ds_bpermute_b32 v4, v6, v2
	s_waitcnt lgkmcnt(0)
	v_add_f64 v[0:1], v[1:2], v[3:4]
	ds_bpermute_b32 v2, v7, v0
	ds_bpermute_b32 v3, v7, v1
	s_waitcnt lgkmcnt(0)
	v_add_f64 v[0:1], v[0:1], v[2:3]
	;; [unrolled: 4-line block ×4, first 2 shown]
	s_or_b32 exec_lo, exec_lo, s1
	s_and_saveexec_b32 s0, vcc_lo
	s_cbranch_execz .LBB71_15
.LBB71_18:
	s_load_dwordx4 s[8:11], s[4:5], 0x48
	v_mov_b32_e32 v0, 0
	s_waitcnt lgkmcnt(0)
	s_mul_i32 s1, s11, s2
	s_mul_hi_u32 s3, s10, s2
	s_mul_i32 s0, s10, s2
	s_add_i32 s1, s3, s1
	s_lshl_b64 s[0:1], s[0:1], 3
	s_add_u32 s2, s8, s0
	s_addc_u32 s3, s9, s1
	s_lshl_b64 s[0:1], s[6:7], 3
	s_add_u32 s0, s2, s0
	s_addc_u32 s1, s3, s1
	global_store_dwordx2 v0, v[1:2], s[0:1]
	s_endpgm
	.section	.rodata,"a",@progbits
	.p2align	6, 0x0
	.amdhsa_kernel _ZL20rocblas_trmvt_kernelILi512ELb1ELb1ELb0EPKPKdPKPdS4_EviT3_lllT4_lllT5_li
		.amdhsa_group_segment_fixed_size 256
		.amdhsa_private_segment_fixed_size 0
		.amdhsa_kernarg_size 92
		.amdhsa_user_sgpr_count 6
		.amdhsa_user_sgpr_private_segment_buffer 1
		.amdhsa_user_sgpr_dispatch_ptr 0
		.amdhsa_user_sgpr_queue_ptr 0
		.amdhsa_user_sgpr_kernarg_segment_ptr 1
		.amdhsa_user_sgpr_dispatch_id 0
		.amdhsa_user_sgpr_flat_scratch_init 0
		.amdhsa_user_sgpr_private_segment_size 0
		.amdhsa_wavefront_size32 1
		.amdhsa_uses_dynamic_stack 0
		.amdhsa_system_sgpr_private_segment_wavefront_offset 0
		.amdhsa_system_sgpr_workgroup_id_x 1
		.amdhsa_system_sgpr_workgroup_id_y 0
		.amdhsa_system_sgpr_workgroup_id_z 1
		.amdhsa_system_sgpr_workgroup_info 0
		.amdhsa_system_vgpr_workitem_id 0
		.amdhsa_next_free_vgpr 12
		.amdhsa_next_free_sgpr 24
		.amdhsa_reserve_vcc 1
		.amdhsa_reserve_flat_scratch 0
		.amdhsa_float_round_mode_32 0
		.amdhsa_float_round_mode_16_64 0
		.amdhsa_float_denorm_mode_32 3
		.amdhsa_float_denorm_mode_16_64 3
		.amdhsa_dx10_clamp 1
		.amdhsa_ieee_mode 1
		.amdhsa_fp16_overflow 0
		.amdhsa_workgroup_processor_mode 1
		.amdhsa_memory_ordered 1
		.amdhsa_forward_progress 1
		.amdhsa_shared_vgpr_count 0
		.amdhsa_exception_fp_ieee_invalid_op 0
		.amdhsa_exception_fp_denorm_src 0
		.amdhsa_exception_fp_ieee_div_zero 0
		.amdhsa_exception_fp_ieee_overflow 0
		.amdhsa_exception_fp_ieee_underflow 0
		.amdhsa_exception_fp_ieee_inexact 0
		.amdhsa_exception_int_div_zero 0
	.end_amdhsa_kernel
	.section	.text._ZL20rocblas_trmvt_kernelILi512ELb1ELb1ELb0EPKPKdPKPdS4_EviT3_lllT4_lllT5_li,"axG",@progbits,_ZL20rocblas_trmvt_kernelILi512ELb1ELb1ELb0EPKPKdPKPdS4_EviT3_lllT4_lllT5_li,comdat
.Lfunc_end71:
	.size	_ZL20rocblas_trmvt_kernelILi512ELb1ELb1ELb0EPKPKdPKPdS4_EviT3_lllT4_lllT5_li, .Lfunc_end71-_ZL20rocblas_trmvt_kernelILi512ELb1ELb1ELb0EPKPKdPKPdS4_EviT3_lllT4_lllT5_li
                                        ; -- End function
	.set _ZL20rocblas_trmvt_kernelILi512ELb1ELb1ELb0EPKPKdPKPdS4_EviT3_lllT4_lllT5_li.num_vgpr, 12
	.set _ZL20rocblas_trmvt_kernelILi512ELb1ELb1ELb0EPKPKdPKPdS4_EviT3_lllT4_lllT5_li.num_agpr, 0
	.set _ZL20rocblas_trmvt_kernelILi512ELb1ELb1ELb0EPKPKdPKPdS4_EviT3_lllT4_lllT5_li.numbered_sgpr, 24
	.set _ZL20rocblas_trmvt_kernelILi512ELb1ELb1ELb0EPKPKdPKPdS4_EviT3_lllT4_lllT5_li.num_named_barrier, 0
	.set _ZL20rocblas_trmvt_kernelILi512ELb1ELb1ELb0EPKPKdPKPdS4_EviT3_lllT4_lllT5_li.private_seg_size, 0
	.set _ZL20rocblas_trmvt_kernelILi512ELb1ELb1ELb0EPKPKdPKPdS4_EviT3_lllT4_lllT5_li.uses_vcc, 1
	.set _ZL20rocblas_trmvt_kernelILi512ELb1ELb1ELb0EPKPKdPKPdS4_EviT3_lllT4_lllT5_li.uses_flat_scratch, 0
	.set _ZL20rocblas_trmvt_kernelILi512ELb1ELb1ELb0EPKPKdPKPdS4_EviT3_lllT4_lllT5_li.has_dyn_sized_stack, 0
	.set _ZL20rocblas_trmvt_kernelILi512ELb1ELb1ELb0EPKPKdPKPdS4_EviT3_lllT4_lllT5_li.has_recursion, 0
	.set _ZL20rocblas_trmvt_kernelILi512ELb1ELb1ELb0EPKPKdPKPdS4_EviT3_lllT4_lllT5_li.has_indirect_call, 0
	.section	.AMDGPU.csdata,"",@progbits
; Kernel info:
; codeLenInByte = 1196
; TotalNumSgprs: 26
; NumVgprs: 12
; ScratchSize: 0
; MemoryBound: 1
; FloatMode: 240
; IeeeMode: 1
; LDSByteSize: 256 bytes/workgroup (compile time only)
; SGPRBlocks: 0
; VGPRBlocks: 1
; NumSGPRsForWavesPerEU: 26
; NumVGPRsForWavesPerEU: 12
; Occupancy: 16
; WaveLimiterHint : 1
; COMPUTE_PGM_RSRC2:SCRATCH_EN: 0
; COMPUTE_PGM_RSRC2:USER_SGPR: 6
; COMPUTE_PGM_RSRC2:TRAP_HANDLER: 0
; COMPUTE_PGM_RSRC2:TGID_X_EN: 1
; COMPUTE_PGM_RSRC2:TGID_Y_EN: 0
; COMPUTE_PGM_RSRC2:TGID_Z_EN: 1
; COMPUTE_PGM_RSRC2:TIDIG_COMP_CNT: 0
	.section	.text._ZL20rocblas_trmvn_kernelILi64ELi16ELb0ELb1EPKPK19rocblas_complex_numIfEPKPS1_S6_EviT3_lllT4_lllT5_li,"axG",@progbits,_ZL20rocblas_trmvn_kernelILi64ELi16ELb0ELb1EPKPK19rocblas_complex_numIfEPKPS1_S6_EviT3_lllT4_lllT5_li,comdat
	.globl	_ZL20rocblas_trmvn_kernelILi64ELi16ELb0ELb1EPKPK19rocblas_complex_numIfEPKPS1_S6_EviT3_lllT4_lllT5_li ; -- Begin function _ZL20rocblas_trmvn_kernelILi64ELi16ELb0ELb1EPKPK19rocblas_complex_numIfEPKPS1_S6_EviT3_lllT4_lllT5_li
	.p2align	8
	.type	_ZL20rocblas_trmvn_kernelILi64ELi16ELb0ELb1EPKPK19rocblas_complex_numIfEPKPS1_S6_EviT3_lllT4_lllT5_li,@function
_ZL20rocblas_trmvn_kernelILi64ELi16ELb0ELb1EPKPK19rocblas_complex_numIfEPKPS1_S6_EviT3_lllT4_lllT5_li: ; @_ZL20rocblas_trmvn_kernelILi64ELi16ELb0ELb1EPKPK19rocblas_complex_numIfEPKPS1_S6_EviT3_lllT4_lllT5_li
; %bb.0:
	s_clause 0x1
	s_load_dwordx4 s[0:3], s[4:5], 0x8
	s_load_dwordx4 s[8:11], s[4:5], 0x28
	s_mov_b32 s12, s7
	s_mov_b32 s13, 0
	s_clause 0x1
	s_load_dword s18, s[4:5], 0x0
	s_load_dwordx2 s[14:15], s[4:5], 0x38
	s_lshl_b64 s[20:21], s[12:13], 3
	v_lshl_add_u32 v2, s6, 6, v0
	v_mov_b32_e32 v4, 0
	v_mov_b32_e32 v5, v4
	s_waitcnt lgkmcnt(0)
	s_add_u32 s16, s0, s20
	s_addc_u32 s17, s1, s21
	s_add_u32 s0, s8, s20
	s_addc_u32 s1, s9, s21
	v_cmp_gt_i32_e32 vcc_lo, s18, v2
	s_load_dwordx2 s[8:9], s[0:1], 0x0
	v_cmp_eq_u32_e64 s0, 0, v1
	s_and_b32 s0, s0, vcc_lo
	s_and_saveexec_b32 s1, s0
	s_cbranch_execz .LBB72_2
; %bb.1:
	v_ashrrev_i32_e32 v5, 31, v2
	v_mul_lo_u32 v6, s15, v2
	v_mad_u64_u32 v[3:4], null, s14, v2, 0
	s_lshl_b64 s[6:7], s[10:11], 3
	v_mul_lo_u32 v5, s14, v5
	s_waitcnt lgkmcnt(0)
	s_add_u32 s0, s8, s6
	s_addc_u32 s6, s9, s7
	v_add3_u32 v4, v4, v5, v6
	v_lshlrev_b64 v[3:4], 3, v[3:4]
	v_add_co_u32 v3, s0, s0, v3
	v_add_co_ci_u32_e64 v4, null, s6, v4, s0
	flat_load_dwordx2 v[4:5], v[3:4]
.LBB72_2:
	s_or_b32 exec_lo, exec_lo, s1
	s_load_dword s13, s[4:5], 0x6c
	s_mov_b32 s19, exec_lo
	v_cmpx_gt_i32_e64 s18, v1
	s_cbranch_execz .LBB72_8
; %bb.3:
	s_load_dwordx2 s[6:7], s[4:5], 0x18
	v_mad_u64_u32 v[8:9], null, s14, v1, 0
	s_load_dwordx2 s[16:17], s[16:17], 0x0
	s_lshl_b64 s[0:1], s[10:11], 3
	s_waitcnt lgkmcnt(0)
	s_add_u32 s8, s8, s0
	s_addc_u32 s9, s9, s1
	s_lshl_b64 s[0:1], s[2:3], 3
	s_lshl_b64 s[2:3], s[14:15], 7
	v_mad_u64_u32 v[6:7], null, s6, v1, 0
	v_mov_b32_e32 v3, v7
	s_waitcnt vmcnt(0)
	v_mad_u64_u32 v[10:11], null, s7, v1, v[3:4]
	v_mov_b32_e32 v3, v9
	s_lshl_b64 s[6:7], s[6:7], 7
	v_mov_b32_e32 v7, v10
	v_mad_u64_u32 v[9:10], null, s15, v1, v[3:4]
	v_ashrrev_i32_e32 v3, 31, v2
	v_lshlrev_b64 v[6:7], 3, v[6:7]
	v_lshlrev_b64 v[10:11], 3, v[2:3]
	v_add_co_u32 v3, s0, v6, s0
	v_add_co_ci_u32_e64 v12, null, s1, v7, s0
	v_lshlrev_b64 v[6:7], 3, v[8:9]
	v_add_co_u32 v3, s0, v3, v10
	v_add_co_ci_u32_e64 v9, null, v12, v11, s0
	v_add_co_u32 v6, s0, s8, v6
	v_add_co_ci_u32_e64 v7, null, s9, v7, s0
	;; [unrolled: 2-line block ×3, first 2 shown]
	v_mov_b32_e32 v3, v1
	s_mov_b32 s8, 0
	s_inst_prefetch 0x1
	s_branch .LBB72_5
	.p2align	6
.LBB72_4:                               ;   in Loop: Header=BB72_5 Depth=1
	s_or_b32 exec_lo, exec_lo, s1
	v_add_nc_u32_e32 v3, 16, v3
	v_add_co_u32 v6, s0, v6, s2
	v_add_co_ci_u32_e64 v7, null, s3, v7, s0
	v_cmp_le_i32_e64 s0, s18, v3
	v_add_co_u32 v8, s1, v8, s6
	v_add_co_ci_u32_e64 v9, null, s7, v9, s1
	s_or_b32 s8, s0, s8
	s_andn2_b32 exec_lo, exec_lo, s8
	s_cbranch_execz .LBB72_7
.LBB72_5:                               ; =>This Inner Loop Header: Depth=1
	s_mov_b32 s1, exec_lo
	v_cmpx_gt_i32_e64 v3, v2
	s_cbranch_execz .LBB72_4
; %bb.6:                                ;   in Loop: Header=BB72_5 Depth=1
	flat_load_dwordx2 v[10:11], v[8:9]
	flat_load_dwordx2 v[12:13], v[6:7]
	s_waitcnt vmcnt(0) lgkmcnt(0)
	v_mul_f32_e32 v14, v13, v11
	v_mul_f32_e32 v11, v12, v11
	v_fma_f32 v12, v12, v10, -v14
	v_fmac_f32_e32 v11, v13, v10
	v_add_f32_e32 v4, v4, v12
	v_add_f32_e32 v5, v5, v11
	s_branch .LBB72_4
.LBB72_7:
	s_inst_prefetch 0x2
	s_or_b32 exec_lo, exec_lo, s8
.LBB72_8:
	s_or_b32 exec_lo, exec_lo, s19
	v_lshlrev_b32_e32 v3, 3, v0
	s_waitcnt lgkmcnt(0)
	s_and_b32 s1, 0xffff, s13
	s_mov_b32 s2, exec_lo
	v_mad_u32_u24 v0, v1, s1, v0
	v_lshl_add_u32 v6, v1, 9, v3
	s_waitcnt vmcnt(0)
	ds_write_b64 v6, v[4:5]
	s_waitcnt lgkmcnt(0)
	s_barrier
	buffer_gl0_inv
	v_cmpx_gt_u32_e32 64, v0
	s_cbranch_execz .LBB72_11
; %bb.9:
	v_mul_u32_u24_e32 v0, s1, v1
	v_lshl_add_u32 v0, v0, 3, v3
	ds_read2st64_b64 v[3:6], v0 offset1:1
	ds_read2st64_b64 v[7:10], v0 offset0:2 offset1:3
	ds_read2st64_b64 v[11:14], v0 offset0:4 offset1:5
	s_waitcnt lgkmcnt(2)
	v_add_f32_e32 v1, v3, v5
	v_add_f32_e32 v15, v4, v6
	ds_read2st64_b64 v[3:6], v0 offset0:6 offset1:7
	s_waitcnt lgkmcnt(2)
	v_add_f32_e32 v1, v1, v7
	v_add_f32_e32 v7, v15, v8
	v_add_f32_e32 v1, v1, v9
	v_add_f32_e32 v15, v7, v10
	ds_read2st64_b64 v[7:10], v0 offset0:8 offset1:9
	s_waitcnt lgkmcnt(2)
	v_add_f32_e32 v1, v1, v11
	v_add_f32_e32 v11, v15, v12
	;; [unrolled: 6-line block ×5, first 2 shown]
	v_add_f32_e32 v1, v1, v13
	v_add_f32_e32 v11, v11, v14
	s_waitcnt lgkmcnt(1)
	v_add_f32_e32 v1, v1, v3
	v_add_f32_e32 v3, v11, v4
	;; [unrolled: 1-line block ×4, first 2 shown]
	s_waitcnt lgkmcnt(0)
	v_add_f32_e32 v1, v1, v7
	v_add_f32_e32 v4, v3, v8
	;; [unrolled: 1-line block ×4, first 2 shown]
	ds_write_b64 v0, v[3:4]
	s_and_b32 exec_lo, exec_lo, vcc_lo
	s_cbranch_execz .LBB72_11
; %bb.10:
	s_load_dwordx4 s[0:3], s[4:5], 0x48
	ds_read_b64 v[0:1], v0
	v_ashrrev_i32_e32 v3, 31, v2
	v_lshlrev_b64 v[2:3], 3, v[2:3]
	s_waitcnt lgkmcnt(0)
	s_mul_i32 s3, s3, s12
	s_mul_hi_u32 s4, s2, s12
	s_mul_i32 s2, s2, s12
	s_add_i32 s3, s4, s3
	s_lshl_b64 s[2:3], s[2:3], 3
	s_add_u32 s0, s0, s2
	s_addc_u32 s1, s1, s3
	v_add_co_u32 v2, vcc_lo, s0, v2
	v_add_co_ci_u32_e64 v3, null, s1, v3, vcc_lo
	global_store_dwordx2 v[2:3], v[0:1], off
.LBB72_11:
	s_endpgm
	.section	.rodata,"a",@progbits
	.p2align	6, 0x0
	.amdhsa_kernel _ZL20rocblas_trmvn_kernelILi64ELi16ELb0ELb1EPKPK19rocblas_complex_numIfEPKPS1_S6_EviT3_lllT4_lllT5_li
		.amdhsa_group_segment_fixed_size 8192
		.amdhsa_private_segment_fixed_size 0
		.amdhsa_kernarg_size 352
		.amdhsa_user_sgpr_count 6
		.amdhsa_user_sgpr_private_segment_buffer 1
		.amdhsa_user_sgpr_dispatch_ptr 0
		.amdhsa_user_sgpr_queue_ptr 0
		.amdhsa_user_sgpr_kernarg_segment_ptr 1
		.amdhsa_user_sgpr_dispatch_id 0
		.amdhsa_user_sgpr_flat_scratch_init 0
		.amdhsa_user_sgpr_private_segment_size 0
		.amdhsa_wavefront_size32 1
		.amdhsa_uses_dynamic_stack 0
		.amdhsa_system_sgpr_private_segment_wavefront_offset 0
		.amdhsa_system_sgpr_workgroup_id_x 1
		.amdhsa_system_sgpr_workgroup_id_y 0
		.amdhsa_system_sgpr_workgroup_id_z 1
		.amdhsa_system_sgpr_workgroup_info 0
		.amdhsa_system_vgpr_workitem_id 1
		.amdhsa_next_free_vgpr 16
		.amdhsa_next_free_sgpr 22
		.amdhsa_reserve_vcc 1
		.amdhsa_reserve_flat_scratch 0
		.amdhsa_float_round_mode_32 0
		.amdhsa_float_round_mode_16_64 0
		.amdhsa_float_denorm_mode_32 3
		.amdhsa_float_denorm_mode_16_64 3
		.amdhsa_dx10_clamp 1
		.amdhsa_ieee_mode 1
		.amdhsa_fp16_overflow 0
		.amdhsa_workgroup_processor_mode 1
		.amdhsa_memory_ordered 1
		.amdhsa_forward_progress 1
		.amdhsa_shared_vgpr_count 0
		.amdhsa_exception_fp_ieee_invalid_op 0
		.amdhsa_exception_fp_denorm_src 0
		.amdhsa_exception_fp_ieee_div_zero 0
		.amdhsa_exception_fp_ieee_overflow 0
		.amdhsa_exception_fp_ieee_underflow 0
		.amdhsa_exception_fp_ieee_inexact 0
		.amdhsa_exception_int_div_zero 0
	.end_amdhsa_kernel
	.section	.text._ZL20rocblas_trmvn_kernelILi64ELi16ELb0ELb1EPKPK19rocblas_complex_numIfEPKPS1_S6_EviT3_lllT4_lllT5_li,"axG",@progbits,_ZL20rocblas_trmvn_kernelILi64ELi16ELb0ELb1EPKPK19rocblas_complex_numIfEPKPS1_S6_EviT3_lllT4_lllT5_li,comdat
.Lfunc_end72:
	.size	_ZL20rocblas_trmvn_kernelILi64ELi16ELb0ELb1EPKPK19rocblas_complex_numIfEPKPS1_S6_EviT3_lllT4_lllT5_li, .Lfunc_end72-_ZL20rocblas_trmvn_kernelILi64ELi16ELb0ELb1EPKPK19rocblas_complex_numIfEPKPS1_S6_EviT3_lllT4_lllT5_li
                                        ; -- End function
	.set _ZL20rocblas_trmvn_kernelILi64ELi16ELb0ELb1EPKPK19rocblas_complex_numIfEPKPS1_S6_EviT3_lllT4_lllT5_li.num_vgpr, 16
	.set _ZL20rocblas_trmvn_kernelILi64ELi16ELb0ELb1EPKPK19rocblas_complex_numIfEPKPS1_S6_EviT3_lllT4_lllT5_li.num_agpr, 0
	.set _ZL20rocblas_trmvn_kernelILi64ELi16ELb0ELb1EPKPK19rocblas_complex_numIfEPKPS1_S6_EviT3_lllT4_lllT5_li.numbered_sgpr, 22
	.set _ZL20rocblas_trmvn_kernelILi64ELi16ELb0ELb1EPKPK19rocblas_complex_numIfEPKPS1_S6_EviT3_lllT4_lllT5_li.num_named_barrier, 0
	.set _ZL20rocblas_trmvn_kernelILi64ELi16ELb0ELb1EPKPK19rocblas_complex_numIfEPKPS1_S6_EviT3_lllT4_lllT5_li.private_seg_size, 0
	.set _ZL20rocblas_trmvn_kernelILi64ELi16ELb0ELb1EPKPK19rocblas_complex_numIfEPKPS1_S6_EviT3_lllT4_lllT5_li.uses_vcc, 1
	.set _ZL20rocblas_trmvn_kernelILi64ELi16ELb0ELb1EPKPK19rocblas_complex_numIfEPKPS1_S6_EviT3_lllT4_lllT5_li.uses_flat_scratch, 0
	.set _ZL20rocblas_trmvn_kernelILi64ELi16ELb0ELb1EPKPK19rocblas_complex_numIfEPKPS1_S6_EviT3_lllT4_lllT5_li.has_dyn_sized_stack, 0
	.set _ZL20rocblas_trmvn_kernelILi64ELi16ELb0ELb1EPKPK19rocblas_complex_numIfEPKPS1_S6_EviT3_lllT4_lllT5_li.has_recursion, 0
	.set _ZL20rocblas_trmvn_kernelILi64ELi16ELb0ELb1EPKPK19rocblas_complex_numIfEPKPS1_S6_EviT3_lllT4_lllT5_li.has_indirect_call, 0
	.section	.AMDGPU.csdata,"",@progbits
; Kernel info:
; codeLenInByte = 992
; TotalNumSgprs: 24
; NumVgprs: 16
; ScratchSize: 0
; MemoryBound: 0
; FloatMode: 240
; IeeeMode: 1
; LDSByteSize: 8192 bytes/workgroup (compile time only)
; SGPRBlocks: 0
; VGPRBlocks: 1
; NumSGPRsForWavesPerEU: 24
; NumVGPRsForWavesPerEU: 16
; Occupancy: 16
; WaveLimiterHint : 1
; COMPUTE_PGM_RSRC2:SCRATCH_EN: 0
; COMPUTE_PGM_RSRC2:USER_SGPR: 6
; COMPUTE_PGM_RSRC2:TRAP_HANDLER: 0
; COMPUTE_PGM_RSRC2:TGID_X_EN: 1
; COMPUTE_PGM_RSRC2:TGID_Y_EN: 0
; COMPUTE_PGM_RSRC2:TGID_Z_EN: 1
; COMPUTE_PGM_RSRC2:TIDIG_COMP_CNT: 1
	.section	.text._ZL20rocblas_trmvt_kernelILi512ELb0ELb0ELb1EPKPK19rocblas_complex_numIfEPKPS1_S6_EviT3_lllT4_lllT5_li,"axG",@progbits,_ZL20rocblas_trmvt_kernelILi512ELb0ELb0ELb1EPKPK19rocblas_complex_numIfEPKPS1_S6_EviT3_lllT4_lllT5_li,comdat
	.globl	_ZL20rocblas_trmvt_kernelILi512ELb0ELb0ELb1EPKPK19rocblas_complex_numIfEPKPS1_S6_EviT3_lllT4_lllT5_li ; -- Begin function _ZL20rocblas_trmvt_kernelILi512ELb0ELb0ELb1EPKPK19rocblas_complex_numIfEPKPS1_S6_EviT3_lllT4_lllT5_li
	.p2align	8
	.type	_ZL20rocblas_trmvt_kernelILi512ELb0ELb0ELb1EPKPK19rocblas_complex_numIfEPKPS1_S6_EviT3_lllT4_lllT5_li,@function
_ZL20rocblas_trmvt_kernelILi512ELb0ELb0ELb1EPKPK19rocblas_complex_numIfEPKPS1_S6_EviT3_lllT4_lllT5_li: ; @_ZL20rocblas_trmvt_kernelILi512ELb0ELb0ELb1EPKPK19rocblas_complex_numIfEPKPS1_S6_EviT3_lllT4_lllT5_li
; %bb.0:
	s_clause 0x1
	s_load_dwordx4 s[8:11], s[4:5], 0x8
	s_load_dwordx4 s[0:3], s[4:5], 0x28
	s_mov_b32 s12, s7
	s_mov_b32 s13, 0
	v_cmp_eq_u32_e32 vcc_lo, 0, v0
	s_lshl_b64 s[14:15], s[12:13], 3
	v_mov_b32_e32 v5, 0
	v_mov_b32_e32 v6, 0
	s_waitcnt lgkmcnt(0)
	s_add_u32 s16, s8, s14
	s_addc_u32 s17, s9, s15
	s_add_u32 s0, s0, s14
	s_addc_u32 s1, s1, s15
	s_load_dwordx2 s[8:9], s[4:5], 0x38
	s_load_dwordx2 s[14:15], s[0:1], 0x0
	s_ashr_i32 s7, s6, 31
	s_and_saveexec_b32 s0, vcc_lo
	s_cbranch_execz .LBB73_2
; %bb.1:
	s_lshl_b64 s[18:19], s[2:3], 3
	s_waitcnt lgkmcnt(0)
	s_mul_i32 s1, s8, s7
	s_add_u32 s13, s14, s18
	s_mul_hi_u32 s18, s8, s6
	s_addc_u32 s20, s15, s19
	s_add_i32 s1, s18, s1
	s_mul_i32 s18, s9, s6
	s_add_i32 s19, s1, s18
	s_mul_i32 s18, s8, s6
	s_lshl_b64 s[18:19], s[18:19], 3
	s_add_u32 s18, s13, s18
	s_addc_u32 s19, s20, s19
	v_mov_b32_e32 v1, s18
	v_mov_b32_e32 v2, s19
	flat_load_dwordx2 v[1:2], v[1:2]
	s_waitcnt vmcnt(0) lgkmcnt(0)
	v_add_f32_e32 v5, 0, v1
	v_add_f32_e32 v6, 0, v2
.LBB73_2:
	s_or_b32 exec_lo, exec_lo, s0
	s_load_dword s18, s[4:5], 0x0
	s_waitcnt lgkmcnt(0)
	v_cmp_gt_i32_e64 s0, s18, v0
	s_and_saveexec_b32 s13, s0
	s_cbranch_execz .LBB73_8
; %bb.3:
	s_load_dwordx2 s[16:17], s[16:17], 0x0
	s_load_dwordx2 s[20:21], s[4:5], 0x18
	v_mad_u64_u32 v[1:2], null, s8, v0, 0
	v_cndmask_b32_e64 v4, 0, v0, s0
	s_lshl_b64 s[0:1], s[10:11], 3
	v_mad_u64_u32 v[2:3], null, s9, v0, v[2:3]
	v_lshlrev_b32_e32 v3, 3, v4
	s_waitcnt lgkmcnt(0)
	s_add_u32 s10, s16, s0
	s_mul_i32 s11, s20, s7
	s_mul_hi_u32 s16, s20, s6
	s_mul_i32 s19, s21, s6
	s_addc_u32 s17, s17, s1
	s_add_i32 s1, s16, s11
	v_add_co_u32 v7, s10, s10, v3
	s_mul_i32 s0, s20, s6
	s_add_i32 s1, s1, s19
	v_add_co_ci_u32_e64 v8, null, s17, 0, s10
	s_lshl_b64 s[0:1], s[0:1], 3
	v_lshlrev_b64 v[3:4], 3, v[1:2]
	s_lshl_b64 s[2:3], s[2:3], 3
	v_add_co_u32 v1, s0, v7, s0
	v_add_co_ci_u32_e64 v2, null, s1, v8, s0
	s_add_u32 s0, s14, s2
	s_addc_u32 s1, s15, s3
	v_add_co_u32 v3, s0, s0, v3
	v_add_co_ci_u32_e64 v4, null, s1, v4, s0
	v_mov_b32_e32 v7, v0
	s_mov_b32 s10, 0
	s_lshl_b64 s[2:3], s[8:9], 12
	s_inst_prefetch 0x1
	s_branch .LBB73_5
	.p2align	6
.LBB73_4:                               ;   in Loop: Header=BB73_5 Depth=1
	s_or_b32 exec_lo, exec_lo, s1
	v_add_nc_u32_e32 v7, 0x200, v7
	v_add_co_u32 v1, s0, 0x1000, v1
	v_add_co_ci_u32_e64 v2, null, 0, v2, s0
	v_cmp_le_i32_e64 s0, s18, v7
	v_add_co_u32 v3, s1, v3, s2
	v_add_co_ci_u32_e64 v4, null, s3, v4, s1
	s_or_b32 s10, s0, s10
	s_andn2_b32 exec_lo, exec_lo, s10
	s_cbranch_execz .LBB73_7
.LBB73_5:                               ; =>This Inner Loop Header: Depth=1
	s_mov_b32 s1, exec_lo
	v_cmpx_gt_i32_e64 s6, v7
	s_cbranch_execz .LBB73_4
; %bb.6:                                ;   in Loop: Header=BB73_5 Depth=1
	flat_load_dwordx2 v[8:9], v[1:2]
	flat_load_dwordx2 v[10:11], v[3:4]
	s_waitcnt vmcnt(0) lgkmcnt(0)
	v_mul_f32_e32 v12, v11, v9
	v_mul_f32_e32 v9, v10, v9
	v_fma_f32 v10, v10, v8, -v12
	v_fmac_f32_e32 v9, v11, v8
	v_add_f32_e32 v5, v5, v10
	v_add_f32_e32 v6, v6, v9
	s_branch .LBB73_4
.LBB73_7:
	s_inst_prefetch 0x2
	s_or_b32 exec_lo, exec_lo, s10
.LBB73_8:
	s_or_b32 exec_lo, exec_lo, s13
	v_and_b32_e32 v1, 31, v0
	v_cmp_gt_u32_e64 s0, 32, v0
	v_lshlrev_b32_e32 v2, 3, v1
	s_and_saveexec_b32 s1, s0
; %bb.9:
	v_mov_b32_e32 v3, 0
	v_mov_b32_e32 v4, v3
	ds_write_b64 v2, v[3:4]
; %bb.10:
	s_or_b32 exec_lo, exec_lo, s1
	v_mbcnt_lo_u32_b32 v7, -1, 0
	s_mov_b32 s2, exec_lo
	s_waitcnt lgkmcnt(0)
	s_barrier
	buffer_gl0_inv
	v_lshl_or_b32 v3, v7, 2, 64
	v_cmp_gt_u32_e64 s1, 24, v7
	ds_bpermute_b32 v4, v3, v5
	ds_bpermute_b32 v8, v3, v6
	v_cndmask_b32_e64 v3, 0, 8, s1
	v_cmp_gt_u32_e64 s1, 28, v7
	v_add_lshl_u32 v3, v3, v7, 2
	s_waitcnt lgkmcnt(1)
	v_add_f32_e32 v5, v5, v4
	s_waitcnt lgkmcnt(0)
	v_add_f32_e32 v6, v6, v8
	v_cndmask_b32_e64 v4, 0, 4, s1
	v_cmp_gt_u32_e64 s1, 30, v7
	ds_bpermute_b32 v8, v3, v5
	ds_bpermute_b32 v9, v3, v6
	v_add_lshl_u32 v4, v4, v7, 2
	s_waitcnt lgkmcnt(1)
	v_add_f32_e32 v8, v5, v8
	s_waitcnt lgkmcnt(0)
	v_add_f32_e32 v6, v6, v9
	v_cndmask_b32_e64 v5, 0, 2, s1
	v_cmp_ne_u32_e64 s1, 31, v7
	ds_bpermute_b32 v9, v4, v8
	ds_bpermute_b32 v10, v4, v6
	v_add_lshl_u32 v5, v5, v7, 2
	s_waitcnt lgkmcnt(1)
	v_add_f32_e32 v8, v8, v9
	s_waitcnt lgkmcnt(0)
	v_add_f32_e32 v9, v6, v10
	v_add_co_ci_u32_e64 v6, null, 0, v7, s1
	ds_bpermute_b32 v10, v5, v8
	ds_bpermute_b32 v11, v5, v9
	v_lshlrev_b32_e32 v6, 2, v6
	s_waitcnt lgkmcnt(1)
	v_add_f32_e32 v7, v8, v10
	s_waitcnt lgkmcnt(0)
	v_add_f32_e32 v9, v9, v11
	ds_bpermute_b32 v8, v6, v7
	ds_bpermute_b32 v10, v6, v9
	v_cmpx_eq_u32_e32 0, v1
	s_cbranch_execz .LBB73_12
; %bb.11:
	v_lshrrev_b32_e32 v1, 2, v0
	s_waitcnt lgkmcnt(0)
	v_add_f32_e32 v9, v9, v10
	v_add_f32_e32 v8, v7, v8
	v_and_b32_e32 v1, 0x78, v1
	ds_write_b64 v1, v[8:9]
.LBB73_12:
	s_or_b32 exec_lo, exec_lo, s2
	v_cmp_gt_u32_e64 s1, 16, v0
	v_mov_b32_e32 v1, 0
	v_mov_b32_e32 v0, 0
	s_waitcnt lgkmcnt(0)
	s_barrier
	buffer_gl0_inv
	s_and_saveexec_b32 s2, s1
	s_cbranch_execnz .LBB73_16
; %bb.13:
	s_or_b32 exec_lo, exec_lo, s2
	s_and_saveexec_b32 s1, s0
	s_cbranch_execnz .LBB73_17
.LBB73_14:
	s_or_b32 exec_lo, exec_lo, s1
	s_and_saveexec_b32 s0, vcc_lo
	s_cbranch_execnz .LBB73_18
.LBB73_15:
	s_endpgm
.LBB73_16:
	ds_read_b64 v[0:1], v2
	s_or_b32 exec_lo, exec_lo, s2
	s_and_saveexec_b32 s1, s0
	s_cbranch_execz .LBB73_14
.LBB73_17:
	s_waitcnt lgkmcnt(0)
	ds_bpermute_b32 v2, v3, v0
	ds_bpermute_b32 v3, v3, v1
	s_waitcnt lgkmcnt(1)
	v_add_f32_e32 v0, v0, v2
	s_waitcnt lgkmcnt(0)
	v_add_f32_e32 v1, v1, v3
	ds_bpermute_b32 v2, v4, v0
	ds_bpermute_b32 v3, v4, v1
	s_waitcnt lgkmcnt(1)
	v_add_f32_e32 v0, v0, v2
	s_waitcnt lgkmcnt(0)
	v_add_f32_e32 v1, v1, v3
	ds_bpermute_b32 v2, v5, v0
	ds_bpermute_b32 v3, v5, v1
	s_waitcnt lgkmcnt(1)
	v_add_f32_e32 v0, v0, v2
	s_waitcnt lgkmcnt(0)
	v_add_f32_e32 v1, v1, v3
	ds_bpermute_b32 v2, v6, v0
	ds_bpermute_b32 v3, v6, v1
	s_waitcnt lgkmcnt(1)
	v_add_f32_e32 v0, v0, v2
	s_waitcnt lgkmcnt(0)
	v_add_f32_e32 v1, v1, v3
	s_or_b32 exec_lo, exec_lo, s1
	s_and_saveexec_b32 s0, vcc_lo
	s_cbranch_execz .LBB73_15
.LBB73_18:
	s_load_dwordx4 s[0:3], s[4:5], 0x48
	v_mov_b32_e32 v2, 0
	s_waitcnt lgkmcnt(0)
	s_mul_i32 s3, s3, s12
	s_mul_hi_u32 s4, s2, s12
	s_mul_i32 s2, s2, s12
	s_add_i32 s3, s4, s3
	s_lshl_b64 s[2:3], s[2:3], 3
	s_add_u32 s2, s0, s2
	s_addc_u32 s3, s1, s3
	s_lshl_b64 s[0:1], s[6:7], 3
	s_add_u32 s0, s2, s0
	s_addc_u32 s1, s3, s1
	global_store_dwordx2 v2, v[0:1], s[0:1]
	s_endpgm
	.section	.rodata,"a",@progbits
	.p2align	6, 0x0
	.amdhsa_kernel _ZL20rocblas_trmvt_kernelILi512ELb0ELb0ELb1EPKPK19rocblas_complex_numIfEPKPS1_S6_EviT3_lllT4_lllT5_li
		.amdhsa_group_segment_fixed_size 256
		.amdhsa_private_segment_fixed_size 0
		.amdhsa_kernarg_size 92
		.amdhsa_user_sgpr_count 6
		.amdhsa_user_sgpr_private_segment_buffer 1
		.amdhsa_user_sgpr_dispatch_ptr 0
		.amdhsa_user_sgpr_queue_ptr 0
		.amdhsa_user_sgpr_kernarg_segment_ptr 1
		.amdhsa_user_sgpr_dispatch_id 0
		.amdhsa_user_sgpr_flat_scratch_init 0
		.amdhsa_user_sgpr_private_segment_size 0
		.amdhsa_wavefront_size32 1
		.amdhsa_uses_dynamic_stack 0
		.amdhsa_system_sgpr_private_segment_wavefront_offset 0
		.amdhsa_system_sgpr_workgroup_id_x 1
		.amdhsa_system_sgpr_workgroup_id_y 0
		.amdhsa_system_sgpr_workgroup_id_z 1
		.amdhsa_system_sgpr_workgroup_info 0
		.amdhsa_system_vgpr_workitem_id 0
		.amdhsa_next_free_vgpr 13
		.amdhsa_next_free_sgpr 22
		.amdhsa_reserve_vcc 1
		.amdhsa_reserve_flat_scratch 0
		.amdhsa_float_round_mode_32 0
		.amdhsa_float_round_mode_16_64 0
		.amdhsa_float_denorm_mode_32 3
		.amdhsa_float_denorm_mode_16_64 3
		.amdhsa_dx10_clamp 1
		.amdhsa_ieee_mode 1
		.amdhsa_fp16_overflow 0
		.amdhsa_workgroup_processor_mode 1
		.amdhsa_memory_ordered 1
		.amdhsa_forward_progress 1
		.amdhsa_shared_vgpr_count 0
		.amdhsa_exception_fp_ieee_invalid_op 0
		.amdhsa_exception_fp_denorm_src 0
		.amdhsa_exception_fp_ieee_div_zero 0
		.amdhsa_exception_fp_ieee_overflow 0
		.amdhsa_exception_fp_ieee_underflow 0
		.amdhsa_exception_fp_ieee_inexact 0
		.amdhsa_exception_int_div_zero 0
	.end_amdhsa_kernel
	.section	.text._ZL20rocblas_trmvt_kernelILi512ELb0ELb0ELb1EPKPK19rocblas_complex_numIfEPKPS1_S6_EviT3_lllT4_lllT5_li,"axG",@progbits,_ZL20rocblas_trmvt_kernelILi512ELb0ELb0ELb1EPKPK19rocblas_complex_numIfEPKPS1_S6_EviT3_lllT4_lllT5_li,comdat
.Lfunc_end73:
	.size	_ZL20rocblas_trmvt_kernelILi512ELb0ELb0ELb1EPKPK19rocblas_complex_numIfEPKPS1_S6_EviT3_lllT4_lllT5_li, .Lfunc_end73-_ZL20rocblas_trmvt_kernelILi512ELb0ELb0ELb1EPKPK19rocblas_complex_numIfEPKPS1_S6_EviT3_lllT4_lllT5_li
                                        ; -- End function
	.set _ZL20rocblas_trmvt_kernelILi512ELb0ELb0ELb1EPKPK19rocblas_complex_numIfEPKPS1_S6_EviT3_lllT4_lllT5_li.num_vgpr, 13
	.set _ZL20rocblas_trmvt_kernelILi512ELb0ELb0ELb1EPKPK19rocblas_complex_numIfEPKPS1_S6_EviT3_lllT4_lllT5_li.num_agpr, 0
	.set _ZL20rocblas_trmvt_kernelILi512ELb0ELb0ELb1EPKPK19rocblas_complex_numIfEPKPS1_S6_EviT3_lllT4_lllT5_li.numbered_sgpr, 22
	.set _ZL20rocblas_trmvt_kernelILi512ELb0ELb0ELb1EPKPK19rocblas_complex_numIfEPKPS1_S6_EviT3_lllT4_lllT5_li.num_named_barrier, 0
	.set _ZL20rocblas_trmvt_kernelILi512ELb0ELb0ELb1EPKPK19rocblas_complex_numIfEPKPS1_S6_EviT3_lllT4_lllT5_li.private_seg_size, 0
	.set _ZL20rocblas_trmvt_kernelILi512ELb0ELb0ELb1EPKPK19rocblas_complex_numIfEPKPS1_S6_EviT3_lllT4_lllT5_li.uses_vcc, 1
	.set _ZL20rocblas_trmvt_kernelILi512ELb0ELb0ELb1EPKPK19rocblas_complex_numIfEPKPS1_S6_EviT3_lllT4_lllT5_li.uses_flat_scratch, 0
	.set _ZL20rocblas_trmvt_kernelILi512ELb0ELb0ELb1EPKPK19rocblas_complex_numIfEPKPS1_S6_EviT3_lllT4_lllT5_li.has_dyn_sized_stack, 0
	.set _ZL20rocblas_trmvt_kernelILi512ELb0ELb0ELb1EPKPK19rocblas_complex_numIfEPKPS1_S6_EviT3_lllT4_lllT5_li.has_recursion, 0
	.set _ZL20rocblas_trmvt_kernelILi512ELb0ELb0ELb1EPKPK19rocblas_complex_numIfEPKPS1_S6_EviT3_lllT4_lllT5_li.has_indirect_call, 0
	.section	.AMDGPU.csdata,"",@progbits
; Kernel info:
; codeLenInByte = 1188
; TotalNumSgprs: 24
; NumVgprs: 13
; ScratchSize: 0
; MemoryBound: 0
; FloatMode: 240
; IeeeMode: 1
; LDSByteSize: 256 bytes/workgroup (compile time only)
; SGPRBlocks: 0
; VGPRBlocks: 1
; NumSGPRsForWavesPerEU: 24
; NumVGPRsForWavesPerEU: 13
; Occupancy: 16
; WaveLimiterHint : 1
; COMPUTE_PGM_RSRC2:SCRATCH_EN: 0
; COMPUTE_PGM_RSRC2:USER_SGPR: 6
; COMPUTE_PGM_RSRC2:TRAP_HANDLER: 0
; COMPUTE_PGM_RSRC2:TGID_X_EN: 1
; COMPUTE_PGM_RSRC2:TGID_Y_EN: 0
; COMPUTE_PGM_RSRC2:TGID_Z_EN: 1
; COMPUTE_PGM_RSRC2:TIDIG_COMP_CNT: 0
	.section	.text._ZL20rocblas_trmvt_kernelILi512ELb0ELb1ELb1EPKPK19rocblas_complex_numIfEPKPS1_S6_EviT3_lllT4_lllT5_li,"axG",@progbits,_ZL20rocblas_trmvt_kernelILi512ELb0ELb1ELb1EPKPK19rocblas_complex_numIfEPKPS1_S6_EviT3_lllT4_lllT5_li,comdat
	.globl	_ZL20rocblas_trmvt_kernelILi512ELb0ELb1ELb1EPKPK19rocblas_complex_numIfEPKPS1_S6_EviT3_lllT4_lllT5_li ; -- Begin function _ZL20rocblas_trmvt_kernelILi512ELb0ELb1ELb1EPKPK19rocblas_complex_numIfEPKPS1_S6_EviT3_lllT4_lllT5_li
	.p2align	8
	.type	_ZL20rocblas_trmvt_kernelILi512ELb0ELb1ELb1EPKPK19rocblas_complex_numIfEPKPS1_S6_EviT3_lllT4_lllT5_li,@function
_ZL20rocblas_trmvt_kernelILi512ELb0ELb1ELb1EPKPK19rocblas_complex_numIfEPKPS1_S6_EviT3_lllT4_lllT5_li: ; @_ZL20rocblas_trmvt_kernelILi512ELb0ELb1ELb1EPKPK19rocblas_complex_numIfEPKPS1_S6_EviT3_lllT4_lllT5_li
; %bb.0:
	s_clause 0x1
	s_load_dwordx4 s[8:11], s[4:5], 0x8
	s_load_dwordx4 s[0:3], s[4:5], 0x28
	s_mov_b32 s12, s7
	s_mov_b32 s13, 0
	v_cmp_eq_u32_e32 vcc_lo, 0, v0
	s_lshl_b64 s[14:15], s[12:13], 3
	v_mov_b32_e32 v5, 0
	v_mov_b32_e32 v6, 0
	s_waitcnt lgkmcnt(0)
	s_add_u32 s16, s8, s14
	s_addc_u32 s17, s9, s15
	s_add_u32 s0, s0, s14
	s_addc_u32 s1, s1, s15
	s_load_dwordx2 s[8:9], s[4:5], 0x38
	s_load_dwordx2 s[14:15], s[0:1], 0x0
	s_ashr_i32 s7, s6, 31
	s_and_saveexec_b32 s0, vcc_lo
	s_cbranch_execz .LBB74_2
; %bb.1:
	s_lshl_b64 s[18:19], s[2:3], 3
	s_waitcnt lgkmcnt(0)
	s_mul_i32 s1, s8, s7
	s_add_u32 s13, s14, s18
	s_mul_hi_u32 s18, s8, s6
	s_addc_u32 s20, s15, s19
	s_add_i32 s1, s18, s1
	s_mul_i32 s18, s9, s6
	s_add_i32 s19, s1, s18
	s_mul_i32 s18, s8, s6
	s_lshl_b64 s[18:19], s[18:19], 3
	s_add_u32 s18, s13, s18
	s_addc_u32 s19, s20, s19
	v_mov_b32_e32 v1, s18
	v_mov_b32_e32 v2, s19
	flat_load_dwordx2 v[1:2], v[1:2]
	s_waitcnt vmcnt(0) lgkmcnt(0)
	v_add_f32_e32 v5, 0, v1
	v_add_f32_e32 v6, 0, v2
.LBB74_2:
	s_or_b32 exec_lo, exec_lo, s0
	s_load_dword s18, s[4:5], 0x0
	s_waitcnt lgkmcnt(0)
	v_cmp_gt_i32_e64 s0, s18, v0
	s_and_saveexec_b32 s13, s0
	s_cbranch_execz .LBB74_8
; %bb.3:
	s_load_dwordx2 s[16:17], s[16:17], 0x0
	s_load_dwordx2 s[20:21], s[4:5], 0x18
	v_mad_u64_u32 v[1:2], null, s8, v0, 0
	v_cndmask_b32_e64 v4, 0, v0, s0
	s_lshl_b64 s[0:1], s[10:11], 3
	v_mad_u64_u32 v[2:3], null, s9, v0, v[2:3]
	v_lshlrev_b32_e32 v3, 3, v4
	s_waitcnt lgkmcnt(0)
	s_add_u32 s10, s16, s0
	s_mul_i32 s11, s20, s7
	s_mul_hi_u32 s16, s20, s6
	s_mul_i32 s19, s21, s6
	s_addc_u32 s17, s17, s1
	s_add_i32 s1, s16, s11
	v_add_co_u32 v7, s10, s10, v3
	s_mul_i32 s0, s20, s6
	s_add_i32 s1, s1, s19
	v_add_co_ci_u32_e64 v8, null, s17, 0, s10
	s_lshl_b64 s[0:1], s[0:1], 3
	v_lshlrev_b64 v[3:4], 3, v[1:2]
	s_lshl_b64 s[2:3], s[2:3], 3
	v_add_co_u32 v1, s0, v7, s0
	v_add_co_ci_u32_e64 v2, null, s1, v8, s0
	s_add_u32 s0, s14, s2
	s_addc_u32 s1, s15, s3
	v_add_co_u32 v3, s0, s0, v3
	v_add_co_ci_u32_e64 v4, null, s1, v4, s0
	v_mov_b32_e32 v7, v0
	s_mov_b32 s10, 0
	s_lshl_b64 s[2:3], s[8:9], 12
	s_inst_prefetch 0x1
	s_branch .LBB74_5
	.p2align	6
.LBB74_4:                               ;   in Loop: Header=BB74_5 Depth=1
	s_or_b32 exec_lo, exec_lo, s1
	v_add_nc_u32_e32 v7, 0x200, v7
	v_add_co_u32 v3, s0, v3, s2
	v_add_co_ci_u32_e64 v4, null, s3, v4, s0
	v_cmp_le_i32_e64 s0, s18, v7
	v_add_co_u32 v1, s1, 0x1000, v1
	v_add_co_ci_u32_e64 v2, null, 0, v2, s1
	s_or_b32 s10, s0, s10
	s_andn2_b32 exec_lo, exec_lo, s10
	s_cbranch_execz .LBB74_7
.LBB74_5:                               ; =>This Inner Loop Header: Depth=1
	s_mov_b32 s1, exec_lo
	v_cmpx_gt_i32_e64 s6, v7
	s_cbranch_execz .LBB74_4
; %bb.6:                                ;   in Loop: Header=BB74_5 Depth=1
	flat_load_dwordx2 v[8:9], v[1:2]
	flat_load_dwordx2 v[10:11], v[3:4]
	s_waitcnt vmcnt(0) lgkmcnt(0)
	v_mul_f32_e32 v12, v9, v11
	v_mul_f32_e32 v9, v9, v10
	v_fmac_f32_e32 v12, v8, v10
	v_fma_f32 v8, v8, v11, -v9
	v_add_f32_e32 v5, v5, v12
	v_add_f32_e32 v6, v6, v8
	s_branch .LBB74_4
.LBB74_7:
	s_inst_prefetch 0x2
	s_or_b32 exec_lo, exec_lo, s10
.LBB74_8:
	s_or_b32 exec_lo, exec_lo, s13
	v_and_b32_e32 v1, 31, v0
	v_cmp_gt_u32_e64 s0, 32, v0
	v_lshlrev_b32_e32 v2, 3, v1
	s_and_saveexec_b32 s1, s0
; %bb.9:
	v_mov_b32_e32 v3, 0
	v_mov_b32_e32 v4, v3
	ds_write_b64 v2, v[3:4]
; %bb.10:
	s_or_b32 exec_lo, exec_lo, s1
	v_mbcnt_lo_u32_b32 v7, -1, 0
	s_mov_b32 s2, exec_lo
	s_waitcnt lgkmcnt(0)
	s_barrier
	buffer_gl0_inv
	v_lshl_or_b32 v3, v7, 2, 64
	v_cmp_gt_u32_e64 s1, 24, v7
	ds_bpermute_b32 v4, v3, v5
	ds_bpermute_b32 v8, v3, v6
	v_cndmask_b32_e64 v3, 0, 8, s1
	v_cmp_gt_u32_e64 s1, 28, v7
	v_add_lshl_u32 v3, v3, v7, 2
	s_waitcnt lgkmcnt(1)
	v_add_f32_e32 v5, v5, v4
	s_waitcnt lgkmcnt(0)
	v_add_f32_e32 v6, v6, v8
	v_cndmask_b32_e64 v4, 0, 4, s1
	v_cmp_gt_u32_e64 s1, 30, v7
	ds_bpermute_b32 v8, v3, v5
	ds_bpermute_b32 v9, v3, v6
	v_add_lshl_u32 v4, v4, v7, 2
	s_waitcnt lgkmcnt(1)
	v_add_f32_e32 v8, v5, v8
	s_waitcnt lgkmcnt(0)
	v_add_f32_e32 v6, v6, v9
	v_cndmask_b32_e64 v5, 0, 2, s1
	v_cmp_ne_u32_e64 s1, 31, v7
	ds_bpermute_b32 v9, v4, v8
	ds_bpermute_b32 v10, v4, v6
	v_add_lshl_u32 v5, v5, v7, 2
	s_waitcnt lgkmcnt(1)
	v_add_f32_e32 v8, v8, v9
	s_waitcnt lgkmcnt(0)
	v_add_f32_e32 v9, v6, v10
	v_add_co_ci_u32_e64 v6, null, 0, v7, s1
	ds_bpermute_b32 v10, v5, v8
	ds_bpermute_b32 v11, v5, v9
	v_lshlrev_b32_e32 v6, 2, v6
	s_waitcnt lgkmcnt(1)
	v_add_f32_e32 v7, v8, v10
	s_waitcnt lgkmcnt(0)
	v_add_f32_e32 v9, v9, v11
	ds_bpermute_b32 v8, v6, v7
	ds_bpermute_b32 v10, v6, v9
	v_cmpx_eq_u32_e32 0, v1
	s_cbranch_execz .LBB74_12
; %bb.11:
	v_lshrrev_b32_e32 v1, 2, v0
	s_waitcnt lgkmcnt(0)
	v_add_f32_e32 v9, v9, v10
	v_add_f32_e32 v8, v7, v8
	v_and_b32_e32 v1, 0x78, v1
	ds_write_b64 v1, v[8:9]
.LBB74_12:
	s_or_b32 exec_lo, exec_lo, s2
	v_cmp_gt_u32_e64 s1, 16, v0
	v_mov_b32_e32 v1, 0
	v_mov_b32_e32 v0, 0
	s_waitcnt lgkmcnt(0)
	s_barrier
	buffer_gl0_inv
	s_and_saveexec_b32 s2, s1
	s_cbranch_execnz .LBB74_16
; %bb.13:
	s_or_b32 exec_lo, exec_lo, s2
	s_and_saveexec_b32 s1, s0
	s_cbranch_execnz .LBB74_17
.LBB74_14:
	s_or_b32 exec_lo, exec_lo, s1
	s_and_saveexec_b32 s0, vcc_lo
	s_cbranch_execnz .LBB74_18
.LBB74_15:
	s_endpgm
.LBB74_16:
	ds_read_b64 v[0:1], v2
	s_or_b32 exec_lo, exec_lo, s2
	s_and_saveexec_b32 s1, s0
	s_cbranch_execz .LBB74_14
.LBB74_17:
	s_waitcnt lgkmcnt(0)
	ds_bpermute_b32 v2, v3, v0
	ds_bpermute_b32 v3, v3, v1
	s_waitcnt lgkmcnt(1)
	v_add_f32_e32 v0, v0, v2
	s_waitcnt lgkmcnt(0)
	v_add_f32_e32 v1, v1, v3
	ds_bpermute_b32 v2, v4, v0
	ds_bpermute_b32 v3, v4, v1
	s_waitcnt lgkmcnt(1)
	v_add_f32_e32 v0, v0, v2
	s_waitcnt lgkmcnt(0)
	v_add_f32_e32 v1, v1, v3
	;; [unrolled: 6-line block ×4, first 2 shown]
	s_or_b32 exec_lo, exec_lo, s1
	s_and_saveexec_b32 s0, vcc_lo
	s_cbranch_execz .LBB74_15
.LBB74_18:
	s_load_dwordx4 s[0:3], s[4:5], 0x48
	v_mov_b32_e32 v2, 0
	s_waitcnt lgkmcnt(0)
	s_mul_i32 s3, s3, s12
	s_mul_hi_u32 s4, s2, s12
	s_mul_i32 s2, s2, s12
	s_add_i32 s3, s4, s3
	s_lshl_b64 s[2:3], s[2:3], 3
	s_add_u32 s2, s0, s2
	s_addc_u32 s3, s1, s3
	s_lshl_b64 s[0:1], s[6:7], 3
	s_add_u32 s0, s2, s0
	s_addc_u32 s1, s3, s1
	global_store_dwordx2 v2, v[0:1], s[0:1]
	s_endpgm
	.section	.rodata,"a",@progbits
	.p2align	6, 0x0
	.amdhsa_kernel _ZL20rocblas_trmvt_kernelILi512ELb0ELb1ELb1EPKPK19rocblas_complex_numIfEPKPS1_S6_EviT3_lllT4_lllT5_li
		.amdhsa_group_segment_fixed_size 256
		.amdhsa_private_segment_fixed_size 0
		.amdhsa_kernarg_size 92
		.amdhsa_user_sgpr_count 6
		.amdhsa_user_sgpr_private_segment_buffer 1
		.amdhsa_user_sgpr_dispatch_ptr 0
		.amdhsa_user_sgpr_queue_ptr 0
		.amdhsa_user_sgpr_kernarg_segment_ptr 1
		.amdhsa_user_sgpr_dispatch_id 0
		.amdhsa_user_sgpr_flat_scratch_init 0
		.amdhsa_user_sgpr_private_segment_size 0
		.amdhsa_wavefront_size32 1
		.amdhsa_uses_dynamic_stack 0
		.amdhsa_system_sgpr_private_segment_wavefront_offset 0
		.amdhsa_system_sgpr_workgroup_id_x 1
		.amdhsa_system_sgpr_workgroup_id_y 0
		.amdhsa_system_sgpr_workgroup_id_z 1
		.amdhsa_system_sgpr_workgroup_info 0
		.amdhsa_system_vgpr_workitem_id 0
		.amdhsa_next_free_vgpr 13
		.amdhsa_next_free_sgpr 22
		.amdhsa_reserve_vcc 1
		.amdhsa_reserve_flat_scratch 0
		.amdhsa_float_round_mode_32 0
		.amdhsa_float_round_mode_16_64 0
		.amdhsa_float_denorm_mode_32 3
		.amdhsa_float_denorm_mode_16_64 3
		.amdhsa_dx10_clamp 1
		.amdhsa_ieee_mode 1
		.amdhsa_fp16_overflow 0
		.amdhsa_workgroup_processor_mode 1
		.amdhsa_memory_ordered 1
		.amdhsa_forward_progress 1
		.amdhsa_shared_vgpr_count 0
		.amdhsa_exception_fp_ieee_invalid_op 0
		.amdhsa_exception_fp_denorm_src 0
		.amdhsa_exception_fp_ieee_div_zero 0
		.amdhsa_exception_fp_ieee_overflow 0
		.amdhsa_exception_fp_ieee_underflow 0
		.amdhsa_exception_fp_ieee_inexact 0
		.amdhsa_exception_int_div_zero 0
	.end_amdhsa_kernel
	.section	.text._ZL20rocblas_trmvt_kernelILi512ELb0ELb1ELb1EPKPK19rocblas_complex_numIfEPKPS1_S6_EviT3_lllT4_lllT5_li,"axG",@progbits,_ZL20rocblas_trmvt_kernelILi512ELb0ELb1ELb1EPKPK19rocblas_complex_numIfEPKPS1_S6_EviT3_lllT4_lllT5_li,comdat
.Lfunc_end74:
	.size	_ZL20rocblas_trmvt_kernelILi512ELb0ELb1ELb1EPKPK19rocblas_complex_numIfEPKPS1_S6_EviT3_lllT4_lllT5_li, .Lfunc_end74-_ZL20rocblas_trmvt_kernelILi512ELb0ELb1ELb1EPKPK19rocblas_complex_numIfEPKPS1_S6_EviT3_lllT4_lllT5_li
                                        ; -- End function
	.set _ZL20rocblas_trmvt_kernelILi512ELb0ELb1ELb1EPKPK19rocblas_complex_numIfEPKPS1_S6_EviT3_lllT4_lllT5_li.num_vgpr, 13
	.set _ZL20rocblas_trmvt_kernelILi512ELb0ELb1ELb1EPKPK19rocblas_complex_numIfEPKPS1_S6_EviT3_lllT4_lllT5_li.num_agpr, 0
	.set _ZL20rocblas_trmvt_kernelILi512ELb0ELb1ELb1EPKPK19rocblas_complex_numIfEPKPS1_S6_EviT3_lllT4_lllT5_li.numbered_sgpr, 22
	.set _ZL20rocblas_trmvt_kernelILi512ELb0ELb1ELb1EPKPK19rocblas_complex_numIfEPKPS1_S6_EviT3_lllT4_lllT5_li.num_named_barrier, 0
	.set _ZL20rocblas_trmvt_kernelILi512ELb0ELb1ELb1EPKPK19rocblas_complex_numIfEPKPS1_S6_EviT3_lllT4_lllT5_li.private_seg_size, 0
	.set _ZL20rocblas_trmvt_kernelILi512ELb0ELb1ELb1EPKPK19rocblas_complex_numIfEPKPS1_S6_EviT3_lllT4_lllT5_li.uses_vcc, 1
	.set _ZL20rocblas_trmvt_kernelILi512ELb0ELb1ELb1EPKPK19rocblas_complex_numIfEPKPS1_S6_EviT3_lllT4_lllT5_li.uses_flat_scratch, 0
	.set _ZL20rocblas_trmvt_kernelILi512ELb0ELb1ELb1EPKPK19rocblas_complex_numIfEPKPS1_S6_EviT3_lllT4_lllT5_li.has_dyn_sized_stack, 0
	.set _ZL20rocblas_trmvt_kernelILi512ELb0ELb1ELb1EPKPK19rocblas_complex_numIfEPKPS1_S6_EviT3_lllT4_lllT5_li.has_recursion, 0
	.set _ZL20rocblas_trmvt_kernelILi512ELb0ELb1ELb1EPKPK19rocblas_complex_numIfEPKPS1_S6_EviT3_lllT4_lllT5_li.has_indirect_call, 0
	.section	.AMDGPU.csdata,"",@progbits
; Kernel info:
; codeLenInByte = 1188
; TotalNumSgprs: 24
; NumVgprs: 13
; ScratchSize: 0
; MemoryBound: 0
; FloatMode: 240
; IeeeMode: 1
; LDSByteSize: 256 bytes/workgroup (compile time only)
; SGPRBlocks: 0
; VGPRBlocks: 1
; NumSGPRsForWavesPerEU: 24
; NumVGPRsForWavesPerEU: 13
; Occupancy: 16
; WaveLimiterHint : 1
; COMPUTE_PGM_RSRC2:SCRATCH_EN: 0
; COMPUTE_PGM_RSRC2:USER_SGPR: 6
; COMPUTE_PGM_RSRC2:TRAP_HANDLER: 0
; COMPUTE_PGM_RSRC2:TGID_X_EN: 1
; COMPUTE_PGM_RSRC2:TGID_Y_EN: 0
; COMPUTE_PGM_RSRC2:TGID_Z_EN: 1
; COMPUTE_PGM_RSRC2:TIDIG_COMP_CNT: 0
	.section	.text._ZL20rocblas_trmvn_kernelILi64ELi16ELb0ELb0EPKPK19rocblas_complex_numIfEPKPS1_S6_EviT3_lllT4_lllT5_li,"axG",@progbits,_ZL20rocblas_trmvn_kernelILi64ELi16ELb0ELb0EPKPK19rocblas_complex_numIfEPKPS1_S6_EviT3_lllT4_lllT5_li,comdat
	.globl	_ZL20rocblas_trmvn_kernelILi64ELi16ELb0ELb0EPKPK19rocblas_complex_numIfEPKPS1_S6_EviT3_lllT4_lllT5_li ; -- Begin function _ZL20rocblas_trmvn_kernelILi64ELi16ELb0ELb0EPKPK19rocblas_complex_numIfEPKPS1_S6_EviT3_lllT4_lllT5_li
	.p2align	8
	.type	_ZL20rocblas_trmvn_kernelILi64ELi16ELb0ELb0EPKPK19rocblas_complex_numIfEPKPS1_S6_EviT3_lllT4_lllT5_li,@function
_ZL20rocblas_trmvn_kernelILi64ELi16ELb0ELb0EPKPK19rocblas_complex_numIfEPKPS1_S6_EviT3_lllT4_lllT5_li: ; @_ZL20rocblas_trmvn_kernelILi64ELi16ELb0ELb0EPKPK19rocblas_complex_numIfEPKPS1_S6_EviT3_lllT4_lllT5_li
; %bb.0:
	s_clause 0x2
	s_load_dwordx4 s[0:3], s[4:5], 0x8
	s_load_dwordx4 s[8:11], s[4:5], 0x28
	s_load_dword s20, s[4:5], 0x0
	s_mov_b32 s12, s7
	s_mov_b32 s13, 0
	s_clause 0x1
	s_load_dwordx2 s[14:15], s[4:5], 0x18
	s_load_dwordx2 s[16:17], s[4:5], 0x38
	s_lshl_b64 s[18:19], s[12:13], 3
	v_lshl_add_u32 v2, s6, 6, v0
	v_mov_b32_e32 v4, 0
	v_mov_b32_e32 v5, v4
	s_waitcnt lgkmcnt(0)
	s_add_u32 s0, s0, s18
	s_addc_u32 s1, s1, s19
	s_add_u32 s18, s8, s18
	s_addc_u32 s19, s9, s19
	s_load_dwordx2 s[8:9], s[0:1], 0x0
	s_load_dwordx2 s[18:19], s[18:19], 0x0
	v_cmp_eq_u32_e64 s0, 0, v1
	v_cmp_gt_i32_e32 vcc_lo, s20, v2
	s_and_b32 s0, s0, vcc_lo
	s_and_saveexec_b32 s1, s0
	s_cbranch_execz .LBB75_2
; %bb.1:
	v_ashrrev_i32_e32 v3, 31, v2
	v_mul_lo_u32 v8, v2, s15
	v_mul_lo_u32 v10, s17, v2
	v_mad_u64_u32 v[6:7], null, s16, v2, 0
	v_mul_lo_u32 v9, v3, s14
	v_mad_u64_u32 v[4:5], null, v2, s14, v[2:3]
	v_mul_lo_u32 v3, s16, v3
	s_lshl_b64 s[6:7], s[2:3], 3
	s_waitcnt lgkmcnt(0)
	s_add_u32 s0, s8, s6
	s_addc_u32 s13, s9, s7
	s_lshl_b64 s[6:7], s[10:11], 3
	v_add3_u32 v5, v9, v5, v8
	s_add_u32 s6, s18, s6
	v_add3_u32 v7, v7, v3, v10
	s_addc_u32 s7, s19, s7
	v_lshlrev_b64 v[3:4], 3, v[4:5]
	v_lshlrev_b64 v[5:6], 3, v[6:7]
	v_add_co_u32 v3, s0, s0, v3
	v_add_co_ci_u32_e64 v4, null, s13, v4, s0
	v_add_co_u32 v5, s0, s6, v5
	v_add_co_ci_u32_e64 v6, null, s7, v6, s0
	flat_load_dwordx2 v[3:4], v[3:4]
	flat_load_dwordx2 v[6:7], v[5:6]
	s_waitcnt vmcnt(0) lgkmcnt(0)
	v_mul_f32_e32 v8, v7, v4
	v_mul_f32_e32 v5, v6, v4
	v_fma_f32 v4, v6, v3, -v8
	v_fmac_f32_e32 v5, v7, v3
.LBB75_2:
	s_or_b32 exec_lo, exec_lo, s1
	s_load_dword s13, s[4:5], 0x6c
	s_mov_b32 s21, exec_lo
	v_cmpx_gt_i32_e64 s20, v1
	s_cbranch_execz .LBB75_8
; %bb.3:
	v_mad_u64_u32 v[6:7], null, s14, v1, 0
	v_mad_u64_u32 v[8:9], null, s16, v1, 0
	s_lshl_b64 s[0:1], s[10:11], 3
	s_waitcnt lgkmcnt(0)
	s_add_u32 s6, s18, s0
	s_addc_u32 s7, s19, s1
	v_mov_b32_e32 v3, v7
	s_lshl_b64 s[0:1], s[2:3], 3
	s_lshl_b64 s[2:3], s[16:17], 7
	v_mad_u64_u32 v[10:11], null, s15, v1, v[3:4]
	v_mov_b32_e32 v3, v9
	v_mov_b32_e32 v7, v10
	v_mad_u64_u32 v[9:10], null, s17, v1, v[3:4]
	v_ashrrev_i32_e32 v3, 31, v2
	v_lshlrev_b64 v[6:7], 3, v[6:7]
	v_lshlrev_b64 v[10:11], 3, v[2:3]
	v_add_co_u32 v3, s0, v6, s0
	v_add_co_ci_u32_e64 v12, null, s1, v7, s0
	v_lshlrev_b64 v[6:7], 3, v[8:9]
	v_add_co_u32 v3, s0, v3, v10
	v_add_co_ci_u32_e64 v9, null, v12, v11, s0
	v_add_co_u32 v6, s0, s6, v6
	v_add_co_ci_u32_e64 v7, null, s7, v7, s0
	;; [unrolled: 2-line block ×3, first 2 shown]
	v_mov_b32_e32 v3, v1
	s_lshl_b64 s[6:7], s[14:15], 7
	s_mov_b32 s8, 0
	s_inst_prefetch 0x1
	s_branch .LBB75_5
	.p2align	6
.LBB75_4:                               ;   in Loop: Header=BB75_5 Depth=1
	s_or_b32 exec_lo, exec_lo, s1
	v_add_nc_u32_e32 v3, 16, v3
	v_add_co_u32 v6, s0, v6, s2
	v_add_co_ci_u32_e64 v7, null, s3, v7, s0
	v_cmp_le_i32_e64 s0, s20, v3
	v_add_co_u32 v8, s1, v8, s6
	v_add_co_ci_u32_e64 v9, null, s7, v9, s1
	s_or_b32 s8, s0, s8
	s_andn2_b32 exec_lo, exec_lo, s8
	s_cbranch_execz .LBB75_7
.LBB75_5:                               ; =>This Inner Loop Header: Depth=1
	s_mov_b32 s1, exec_lo
	v_cmpx_gt_i32_e64 v3, v2
	s_cbranch_execz .LBB75_4
; %bb.6:                                ;   in Loop: Header=BB75_5 Depth=1
	flat_load_dwordx2 v[10:11], v[8:9]
	flat_load_dwordx2 v[12:13], v[6:7]
	s_waitcnt vmcnt(0) lgkmcnt(0)
	v_mul_f32_e32 v14, v13, v11
	v_mul_f32_e32 v11, v12, v11
	v_fma_f32 v12, v12, v10, -v14
	v_fmac_f32_e32 v11, v13, v10
	v_add_f32_e32 v4, v4, v12
	v_add_f32_e32 v5, v5, v11
	s_branch .LBB75_4
.LBB75_7:
	s_inst_prefetch 0x2
	s_or_b32 exec_lo, exec_lo, s8
.LBB75_8:
	s_or_b32 exec_lo, exec_lo, s21
	v_lshlrev_b32_e32 v3, 3, v0
	s_waitcnt lgkmcnt(0)
	s_and_b32 s1, 0xffff, s13
	s_mov_b32 s2, exec_lo
	v_mad_u32_u24 v0, v1, s1, v0
	v_lshl_add_u32 v6, v1, 9, v3
	ds_write_b64 v6, v[4:5]
	s_waitcnt lgkmcnt(0)
	s_barrier
	buffer_gl0_inv
	v_cmpx_gt_u32_e32 64, v0
	s_cbranch_execz .LBB75_11
; %bb.9:
	v_mul_u32_u24_e32 v0, s1, v1
	v_lshl_add_u32 v0, v0, 3, v3
	ds_read2st64_b64 v[3:6], v0 offset1:1
	ds_read2st64_b64 v[7:10], v0 offset0:2 offset1:3
	ds_read2st64_b64 v[11:14], v0 offset0:4 offset1:5
	s_waitcnt lgkmcnt(2)
	v_add_f32_e32 v1, v3, v5
	v_add_f32_e32 v15, v4, v6
	ds_read2st64_b64 v[3:6], v0 offset0:6 offset1:7
	s_waitcnt lgkmcnt(2)
	v_add_f32_e32 v1, v1, v7
	v_add_f32_e32 v7, v15, v8
	v_add_f32_e32 v1, v1, v9
	v_add_f32_e32 v15, v7, v10
	ds_read2st64_b64 v[7:10], v0 offset0:8 offset1:9
	s_waitcnt lgkmcnt(2)
	v_add_f32_e32 v1, v1, v11
	v_add_f32_e32 v11, v15, v12
	;; [unrolled: 6-line block ×5, first 2 shown]
	v_add_f32_e32 v1, v1, v13
	v_add_f32_e32 v11, v11, v14
	s_waitcnt lgkmcnt(1)
	v_add_f32_e32 v1, v1, v3
	v_add_f32_e32 v3, v11, v4
	;; [unrolled: 1-line block ×4, first 2 shown]
	s_waitcnt lgkmcnt(0)
	v_add_f32_e32 v1, v1, v7
	v_add_f32_e32 v4, v3, v8
	v_add_f32_e32 v3, v1, v9
	v_add_f32_e32 v4, v4, v10
	ds_write_b64 v0, v[3:4]
	s_and_b32 exec_lo, exec_lo, vcc_lo
	s_cbranch_execz .LBB75_11
; %bb.10:
	s_load_dwordx4 s[0:3], s[4:5], 0x48
	ds_read_b64 v[0:1], v0
	v_ashrrev_i32_e32 v3, 31, v2
	v_lshlrev_b64 v[2:3], 3, v[2:3]
	s_waitcnt lgkmcnt(0)
	s_mul_i32 s3, s3, s12
	s_mul_hi_u32 s4, s2, s12
	s_mul_i32 s2, s2, s12
	s_add_i32 s3, s4, s3
	s_lshl_b64 s[2:3], s[2:3], 3
	s_add_u32 s0, s0, s2
	s_addc_u32 s1, s1, s3
	v_add_co_u32 v2, vcc_lo, s0, v2
	v_add_co_ci_u32_e64 v3, null, s1, v3, vcc_lo
	global_store_dwordx2 v[2:3], v[0:1], off
.LBB75_11:
	s_endpgm
	.section	.rodata,"a",@progbits
	.p2align	6, 0x0
	.amdhsa_kernel _ZL20rocblas_trmvn_kernelILi64ELi16ELb0ELb0EPKPK19rocblas_complex_numIfEPKPS1_S6_EviT3_lllT4_lllT5_li
		.amdhsa_group_segment_fixed_size 8192
		.amdhsa_private_segment_fixed_size 0
		.amdhsa_kernarg_size 352
		.amdhsa_user_sgpr_count 6
		.amdhsa_user_sgpr_private_segment_buffer 1
		.amdhsa_user_sgpr_dispatch_ptr 0
		.amdhsa_user_sgpr_queue_ptr 0
		.amdhsa_user_sgpr_kernarg_segment_ptr 1
		.amdhsa_user_sgpr_dispatch_id 0
		.amdhsa_user_sgpr_flat_scratch_init 0
		.amdhsa_user_sgpr_private_segment_size 0
		.amdhsa_wavefront_size32 1
		.amdhsa_uses_dynamic_stack 0
		.amdhsa_system_sgpr_private_segment_wavefront_offset 0
		.amdhsa_system_sgpr_workgroup_id_x 1
		.amdhsa_system_sgpr_workgroup_id_y 0
		.amdhsa_system_sgpr_workgroup_id_z 1
		.amdhsa_system_sgpr_workgroup_info 0
		.amdhsa_system_vgpr_workitem_id 1
		.amdhsa_next_free_vgpr 16
		.amdhsa_next_free_sgpr 22
		.amdhsa_reserve_vcc 1
		.amdhsa_reserve_flat_scratch 0
		.amdhsa_float_round_mode_32 0
		.amdhsa_float_round_mode_16_64 0
		.amdhsa_float_denorm_mode_32 3
		.amdhsa_float_denorm_mode_16_64 3
		.amdhsa_dx10_clamp 1
		.amdhsa_ieee_mode 1
		.amdhsa_fp16_overflow 0
		.amdhsa_workgroup_processor_mode 1
		.amdhsa_memory_ordered 1
		.amdhsa_forward_progress 1
		.amdhsa_shared_vgpr_count 0
		.amdhsa_exception_fp_ieee_invalid_op 0
		.amdhsa_exception_fp_denorm_src 0
		.amdhsa_exception_fp_ieee_div_zero 0
		.amdhsa_exception_fp_ieee_overflow 0
		.amdhsa_exception_fp_ieee_underflow 0
		.amdhsa_exception_fp_ieee_inexact 0
		.amdhsa_exception_int_div_zero 0
	.end_amdhsa_kernel
	.section	.text._ZL20rocblas_trmvn_kernelILi64ELi16ELb0ELb0EPKPK19rocblas_complex_numIfEPKPS1_S6_EviT3_lllT4_lllT5_li,"axG",@progbits,_ZL20rocblas_trmvn_kernelILi64ELi16ELb0ELb0EPKPK19rocblas_complex_numIfEPKPS1_S6_EviT3_lllT4_lllT5_li,comdat
.Lfunc_end75:
	.size	_ZL20rocblas_trmvn_kernelILi64ELi16ELb0ELb0EPKPK19rocblas_complex_numIfEPKPS1_S6_EviT3_lllT4_lllT5_li, .Lfunc_end75-_ZL20rocblas_trmvn_kernelILi64ELi16ELb0ELb0EPKPK19rocblas_complex_numIfEPKPS1_S6_EviT3_lllT4_lllT5_li
                                        ; -- End function
	.set _ZL20rocblas_trmvn_kernelILi64ELi16ELb0ELb0EPKPK19rocblas_complex_numIfEPKPS1_S6_EviT3_lllT4_lllT5_li.num_vgpr, 16
	.set _ZL20rocblas_trmvn_kernelILi64ELi16ELb0ELb0EPKPK19rocblas_complex_numIfEPKPS1_S6_EviT3_lllT4_lllT5_li.num_agpr, 0
	.set _ZL20rocblas_trmvn_kernelILi64ELi16ELb0ELb0EPKPK19rocblas_complex_numIfEPKPS1_S6_EviT3_lllT4_lllT5_li.numbered_sgpr, 22
	.set _ZL20rocblas_trmvn_kernelILi64ELi16ELb0ELb0EPKPK19rocblas_complex_numIfEPKPS1_S6_EviT3_lllT4_lllT5_li.num_named_barrier, 0
	.set _ZL20rocblas_trmvn_kernelILi64ELi16ELb0ELb0EPKPK19rocblas_complex_numIfEPKPS1_S6_EviT3_lllT4_lllT5_li.private_seg_size, 0
	.set _ZL20rocblas_trmvn_kernelILi64ELi16ELb0ELb0EPKPK19rocblas_complex_numIfEPKPS1_S6_EviT3_lllT4_lllT5_li.uses_vcc, 1
	.set _ZL20rocblas_trmvn_kernelILi64ELi16ELb0ELb0EPKPK19rocblas_complex_numIfEPKPS1_S6_EviT3_lllT4_lllT5_li.uses_flat_scratch, 0
	.set _ZL20rocblas_trmvn_kernelILi64ELi16ELb0ELb0EPKPK19rocblas_complex_numIfEPKPS1_S6_EviT3_lllT4_lllT5_li.has_dyn_sized_stack, 0
	.set _ZL20rocblas_trmvn_kernelILi64ELi16ELb0ELb0EPKPK19rocblas_complex_numIfEPKPS1_S6_EviT3_lllT4_lllT5_li.has_recursion, 0
	.set _ZL20rocblas_trmvn_kernelILi64ELi16ELb0ELb0EPKPK19rocblas_complex_numIfEPKPS1_S6_EviT3_lllT4_lllT5_li.has_indirect_call, 0
	.section	.AMDGPU.csdata,"",@progbits
; Kernel info:
; codeLenInByte = 1116
; TotalNumSgprs: 24
; NumVgprs: 16
; ScratchSize: 0
; MemoryBound: 0
; FloatMode: 240
; IeeeMode: 1
; LDSByteSize: 8192 bytes/workgroup (compile time only)
; SGPRBlocks: 0
; VGPRBlocks: 1
; NumSGPRsForWavesPerEU: 24
; NumVGPRsForWavesPerEU: 16
; Occupancy: 16
; WaveLimiterHint : 1
; COMPUTE_PGM_RSRC2:SCRATCH_EN: 0
; COMPUTE_PGM_RSRC2:USER_SGPR: 6
; COMPUTE_PGM_RSRC2:TRAP_HANDLER: 0
; COMPUTE_PGM_RSRC2:TGID_X_EN: 1
; COMPUTE_PGM_RSRC2:TGID_Y_EN: 0
; COMPUTE_PGM_RSRC2:TGID_Z_EN: 1
; COMPUTE_PGM_RSRC2:TIDIG_COMP_CNT: 1
	.section	.text._ZL20rocblas_trmvt_kernelILi512ELb0ELb0ELb0EPKPK19rocblas_complex_numIfEPKPS1_S6_EviT3_lllT4_lllT5_li,"axG",@progbits,_ZL20rocblas_trmvt_kernelILi512ELb0ELb0ELb0EPKPK19rocblas_complex_numIfEPKPS1_S6_EviT3_lllT4_lllT5_li,comdat
	.globl	_ZL20rocblas_trmvt_kernelILi512ELb0ELb0ELb0EPKPK19rocblas_complex_numIfEPKPS1_S6_EviT3_lllT4_lllT5_li ; -- Begin function _ZL20rocblas_trmvt_kernelILi512ELb0ELb0ELb0EPKPK19rocblas_complex_numIfEPKPS1_S6_EviT3_lllT4_lllT5_li
	.p2align	8
	.type	_ZL20rocblas_trmvt_kernelILi512ELb0ELb0ELb0EPKPK19rocblas_complex_numIfEPKPS1_S6_EviT3_lllT4_lllT5_li,@function
_ZL20rocblas_trmvt_kernelILi512ELb0ELb0ELb0EPKPK19rocblas_complex_numIfEPKPS1_S6_EviT3_lllT4_lllT5_li: ; @_ZL20rocblas_trmvt_kernelILi512ELb0ELb0ELb0EPKPK19rocblas_complex_numIfEPKPS1_S6_EviT3_lllT4_lllT5_li
; %bb.0:
	s_clause 0x1
	s_load_dwordx4 s[16:19], s[4:5], 0x8
	s_load_dword s14, s[4:5], 0x0
	s_mov_b32 s2, s7
	s_mov_b32 s3, 0
	s_load_dwordx2 s[22:23], s[4:5], 0x18
	s_lshl_b64 s[20:21], s[2:3], 3
	v_mov_b32_e32 v5, 0
	v_mov_b32_e32 v6, 0
	s_waitcnt lgkmcnt(0)
	s_add_u32 s0, s16, s20
	s_addc_u32 s1, s17, s21
	s_lshl_b64 s[18:19], s[18:19], 3
	s_load_dwordx2 s[16:17], s[0:1], 0x0
	s_clause 0x1
	s_load_dwordx4 s[8:11], s[4:5], 0x28
	s_load_dwordx2 s[12:13], s[4:5], 0x38
	v_cmp_gt_i32_e64 s0, s14, v0
	s_mul_hi_u32 s1, s22, s6
	s_mul_i32 s3, s23, s6
	v_cndmask_b32_e64 v1, 0, v0, s0
	v_lshlrev_b32_e32 v1, 3, v1
	s_waitcnt lgkmcnt(0)
	s_add_u32 s15, s16, s18
	s_addc_u32 s18, s17, s19
	s_add_u32 s8, s8, s20
	s_addc_u32 s9, s9, s21
	s_ashr_i32 s7, s6, 31
	s_load_dwordx2 s[8:9], s[8:9], 0x0
	s_mul_i32 s16, s22, s7
	s_add_i32 s1, s1, s16
	s_mul_i32 s16, s22, s6
	s_add_i32 s17, s1, s3
	v_add_co_u32 v1, s1, s15, v1
	v_add_co_ci_u32_e64 v2, null, s18, 0, s1
	s_lshl_b64 s[16:17], s[16:17], 3
	v_add_co_u32 v1, vcc_lo, v1, s16
	v_add_co_ci_u32_e64 v2, null, s17, v2, vcc_lo
	v_cmp_eq_u32_e32 vcc_lo, 0, v0
	s_and_saveexec_b32 s3, vcc_lo
	s_cbranch_execz .LBB76_2
; %bb.1:
	s_lshl_b64 s[16:17], s[10:11], 3
	s_mul_i32 s1, s12, s7
	s_waitcnt lgkmcnt(0)
	s_add_u32 s15, s8, s16
	s_mul_hi_u32 s16, s12, s6
	s_addc_u32 s20, s9, s17
	s_add_i32 s1, s16, s1
	s_mul_i32 s16, s13, s6
	s_lshl_b64 s[18:19], s[6:7], 3
	s_add_i32 s17, s1, s16
	s_mul_i32 s16, s12, s6
	v_add_co_u32 v3, s1, v1, s18
	s_lshl_b64 s[16:17], s[16:17], 3
	v_add_co_ci_u32_e64 v4, null, s19, v2, s1
	s_add_u32 s16, s15, s16
	s_addc_u32 s17, s20, s17
	v_mov_b32_e32 v5, s16
	v_mov_b32_e32 v6, s17
	flat_load_dwordx2 v[3:4], v[3:4]
	flat_load_dwordx2 v[5:6], v[5:6]
	s_waitcnt vmcnt(0) lgkmcnt(0)
	v_mul_f32_e32 v7, v6, v4
	v_mul_f32_e32 v4, v5, v4
	v_fma_f32 v5, v5, v3, -v7
	v_fmac_f32_e32 v4, v6, v3
	v_add_f32_e32 v5, 0, v5
	v_add_f32_e32 v6, 0, v4
.LBB76_2:
	s_or_b32 exec_lo, exec_lo, s3
	s_and_saveexec_b32 s3, s0
	s_cbranch_execz .LBB76_8
; %bb.3:
	v_mad_u64_u32 v[3:4], null, s12, v0, 0
	s_lshl_b64 s[0:1], s[10:11], 3
	s_mov_b32 s10, 0
	s_waitcnt lgkmcnt(0)
	s_add_u32 s0, s8, s0
	s_addc_u32 s1, s9, s1
	s_lshl_b64 s[8:9], s[12:13], 12
	v_mad_u64_u32 v[7:8], null, s13, v0, v[4:5]
	v_mov_b32_e32 v4, v7
	v_mov_b32_e32 v7, v0
	v_lshlrev_b64 v[3:4], 3, v[3:4]
	v_add_co_u32 v3, s0, s0, v3
	v_add_co_ci_u32_e64 v4, null, s1, v4, s0
	s_inst_prefetch 0x1
	s_branch .LBB76_5
	.p2align	6
.LBB76_4:                               ;   in Loop: Header=BB76_5 Depth=1
	s_or_b32 exec_lo, exec_lo, s1
	v_add_nc_u32_e32 v7, 0x200, v7
	v_add_co_u32 v1, s0, 0x1000, v1
	v_add_co_ci_u32_e64 v2, null, 0, v2, s0
	v_cmp_le_i32_e64 s0, s14, v7
	v_add_co_u32 v3, s1, v3, s8
	v_add_co_ci_u32_e64 v4, null, s9, v4, s1
	s_or_b32 s10, s0, s10
	s_andn2_b32 exec_lo, exec_lo, s10
	s_cbranch_execz .LBB76_7
.LBB76_5:                               ; =>This Inner Loop Header: Depth=1
	s_mov_b32 s1, exec_lo
	v_cmpx_gt_i32_e64 s6, v7
	s_cbranch_execz .LBB76_4
; %bb.6:                                ;   in Loop: Header=BB76_5 Depth=1
	flat_load_dwordx2 v[8:9], v[1:2]
	flat_load_dwordx2 v[10:11], v[3:4]
	s_waitcnt vmcnt(0) lgkmcnt(0)
	v_mul_f32_e32 v12, v11, v9
	v_mul_f32_e32 v9, v10, v9
	v_fma_f32 v10, v10, v8, -v12
	v_fmac_f32_e32 v9, v11, v8
	v_add_f32_e32 v5, v5, v10
	v_add_f32_e32 v6, v6, v9
	s_branch .LBB76_4
.LBB76_7:
	s_inst_prefetch 0x2
	s_or_b32 exec_lo, exec_lo, s10
.LBB76_8:
	s_or_b32 exec_lo, exec_lo, s3
	v_and_b32_e32 v1, 31, v0
	v_cmp_gt_u32_e64 s0, 32, v0
	v_lshlrev_b32_e32 v2, 3, v1
	s_and_saveexec_b32 s1, s0
; %bb.9:
	v_mov_b32_e32 v3, 0
	v_mov_b32_e32 v4, v3
	ds_write_b64 v2, v[3:4]
; %bb.10:
	s_or_b32 exec_lo, exec_lo, s1
	v_mbcnt_lo_u32_b32 v7, -1, 0
	s_mov_b32 s3, exec_lo
	s_waitcnt lgkmcnt(0)
	s_barrier
	buffer_gl0_inv
	v_lshl_or_b32 v3, v7, 2, 64
	v_cmp_gt_u32_e64 s1, 24, v7
	ds_bpermute_b32 v4, v3, v5
	ds_bpermute_b32 v8, v3, v6
	v_cndmask_b32_e64 v3, 0, 8, s1
	v_cmp_gt_u32_e64 s1, 28, v7
	v_add_lshl_u32 v3, v3, v7, 2
	s_waitcnt lgkmcnt(1)
	v_add_f32_e32 v5, v5, v4
	s_waitcnt lgkmcnt(0)
	v_add_f32_e32 v6, v6, v8
	v_cndmask_b32_e64 v4, 0, 4, s1
	v_cmp_gt_u32_e64 s1, 30, v7
	ds_bpermute_b32 v8, v3, v5
	ds_bpermute_b32 v9, v3, v6
	v_add_lshl_u32 v4, v4, v7, 2
	s_waitcnt lgkmcnt(1)
	v_add_f32_e32 v8, v5, v8
	s_waitcnt lgkmcnt(0)
	v_add_f32_e32 v6, v6, v9
	v_cndmask_b32_e64 v5, 0, 2, s1
	v_cmp_ne_u32_e64 s1, 31, v7
	ds_bpermute_b32 v9, v4, v8
	ds_bpermute_b32 v10, v4, v6
	v_add_lshl_u32 v5, v5, v7, 2
	s_waitcnt lgkmcnt(1)
	v_add_f32_e32 v8, v8, v9
	s_waitcnt lgkmcnt(0)
	v_add_f32_e32 v9, v6, v10
	v_add_co_ci_u32_e64 v6, null, 0, v7, s1
	ds_bpermute_b32 v10, v5, v8
	ds_bpermute_b32 v11, v5, v9
	v_lshlrev_b32_e32 v6, 2, v6
	s_waitcnt lgkmcnt(1)
	v_add_f32_e32 v7, v8, v10
	s_waitcnt lgkmcnt(0)
	v_add_f32_e32 v9, v9, v11
	ds_bpermute_b32 v8, v6, v7
	ds_bpermute_b32 v10, v6, v9
	v_cmpx_eq_u32_e32 0, v1
	s_cbranch_execz .LBB76_12
; %bb.11:
	v_lshrrev_b32_e32 v1, 2, v0
	s_waitcnt lgkmcnt(0)
	v_add_f32_e32 v9, v9, v10
	v_add_f32_e32 v8, v7, v8
	v_and_b32_e32 v1, 0x78, v1
	ds_write_b64 v1, v[8:9]
.LBB76_12:
	s_or_b32 exec_lo, exec_lo, s3
	v_cmp_gt_u32_e64 s1, 16, v0
	v_mov_b32_e32 v1, 0
	v_mov_b32_e32 v0, 0
	s_waitcnt lgkmcnt(0)
	s_barrier
	buffer_gl0_inv
	s_and_saveexec_b32 s3, s1
	s_cbranch_execnz .LBB76_16
; %bb.13:
	s_or_b32 exec_lo, exec_lo, s3
	s_and_saveexec_b32 s1, s0
	s_cbranch_execnz .LBB76_17
.LBB76_14:
	s_or_b32 exec_lo, exec_lo, s1
	s_and_saveexec_b32 s0, vcc_lo
	s_cbranch_execnz .LBB76_18
.LBB76_15:
	s_endpgm
.LBB76_16:
	ds_read_b64 v[0:1], v2
	s_or_b32 exec_lo, exec_lo, s3
	s_and_saveexec_b32 s1, s0
	s_cbranch_execz .LBB76_14
.LBB76_17:
	s_waitcnt lgkmcnt(0)
	ds_bpermute_b32 v2, v3, v0
	ds_bpermute_b32 v3, v3, v1
	s_waitcnt lgkmcnt(1)
	v_add_f32_e32 v0, v0, v2
	s_waitcnt lgkmcnt(0)
	v_add_f32_e32 v1, v1, v3
	ds_bpermute_b32 v2, v4, v0
	ds_bpermute_b32 v3, v4, v1
	s_waitcnt lgkmcnt(1)
	v_add_f32_e32 v0, v0, v2
	s_waitcnt lgkmcnt(0)
	v_add_f32_e32 v1, v1, v3
	;; [unrolled: 6-line block ×4, first 2 shown]
	s_or_b32 exec_lo, exec_lo, s1
	s_and_saveexec_b32 s0, vcc_lo
	s_cbranch_execz .LBB76_15
.LBB76_18:
	s_load_dwordx4 s[8:11], s[4:5], 0x48
	v_mov_b32_e32 v2, 0
	s_waitcnt lgkmcnt(0)
	s_mul_i32 s1, s11, s2
	s_mul_hi_u32 s3, s10, s2
	s_mul_i32 s0, s10, s2
	s_add_i32 s1, s3, s1
	s_lshl_b64 s[0:1], s[0:1], 3
	s_add_u32 s2, s8, s0
	s_addc_u32 s3, s9, s1
	s_lshl_b64 s[0:1], s[6:7], 3
	s_add_u32 s0, s2, s0
	s_addc_u32 s1, s3, s1
	global_store_dwordx2 v2, v[0:1], s[0:1]
	s_endpgm
	.section	.rodata,"a",@progbits
	.p2align	6, 0x0
	.amdhsa_kernel _ZL20rocblas_trmvt_kernelILi512ELb0ELb0ELb0EPKPK19rocblas_complex_numIfEPKPS1_S6_EviT3_lllT4_lllT5_li
		.amdhsa_group_segment_fixed_size 256
		.amdhsa_private_segment_fixed_size 0
		.amdhsa_kernarg_size 92
		.amdhsa_user_sgpr_count 6
		.amdhsa_user_sgpr_private_segment_buffer 1
		.amdhsa_user_sgpr_dispatch_ptr 0
		.amdhsa_user_sgpr_queue_ptr 0
		.amdhsa_user_sgpr_kernarg_segment_ptr 1
		.amdhsa_user_sgpr_dispatch_id 0
		.amdhsa_user_sgpr_flat_scratch_init 0
		.amdhsa_user_sgpr_private_segment_size 0
		.amdhsa_wavefront_size32 1
		.amdhsa_uses_dynamic_stack 0
		.amdhsa_system_sgpr_private_segment_wavefront_offset 0
		.amdhsa_system_sgpr_workgroup_id_x 1
		.amdhsa_system_sgpr_workgroup_id_y 0
		.amdhsa_system_sgpr_workgroup_id_z 1
		.amdhsa_system_sgpr_workgroup_info 0
		.amdhsa_system_vgpr_workitem_id 0
		.amdhsa_next_free_vgpr 13
		.amdhsa_next_free_sgpr 24
		.amdhsa_reserve_vcc 1
		.amdhsa_reserve_flat_scratch 0
		.amdhsa_float_round_mode_32 0
		.amdhsa_float_round_mode_16_64 0
		.amdhsa_float_denorm_mode_32 3
		.amdhsa_float_denorm_mode_16_64 3
		.amdhsa_dx10_clamp 1
		.amdhsa_ieee_mode 1
		.amdhsa_fp16_overflow 0
		.amdhsa_workgroup_processor_mode 1
		.amdhsa_memory_ordered 1
		.amdhsa_forward_progress 1
		.amdhsa_shared_vgpr_count 0
		.amdhsa_exception_fp_ieee_invalid_op 0
		.amdhsa_exception_fp_denorm_src 0
		.amdhsa_exception_fp_ieee_div_zero 0
		.amdhsa_exception_fp_ieee_overflow 0
		.amdhsa_exception_fp_ieee_underflow 0
		.amdhsa_exception_fp_ieee_inexact 0
		.amdhsa_exception_int_div_zero 0
	.end_amdhsa_kernel
	.section	.text._ZL20rocblas_trmvt_kernelILi512ELb0ELb0ELb0EPKPK19rocblas_complex_numIfEPKPS1_S6_EviT3_lllT4_lllT5_li,"axG",@progbits,_ZL20rocblas_trmvt_kernelILi512ELb0ELb0ELb0EPKPK19rocblas_complex_numIfEPKPS1_S6_EviT3_lllT4_lllT5_li,comdat
.Lfunc_end76:
	.size	_ZL20rocblas_trmvt_kernelILi512ELb0ELb0ELb0EPKPK19rocblas_complex_numIfEPKPS1_S6_EviT3_lllT4_lllT5_li, .Lfunc_end76-_ZL20rocblas_trmvt_kernelILi512ELb0ELb0ELb0EPKPK19rocblas_complex_numIfEPKPS1_S6_EviT3_lllT4_lllT5_li
                                        ; -- End function
	.set _ZL20rocblas_trmvt_kernelILi512ELb0ELb0ELb0EPKPK19rocblas_complex_numIfEPKPS1_S6_EviT3_lllT4_lllT5_li.num_vgpr, 13
	.set _ZL20rocblas_trmvt_kernelILi512ELb0ELb0ELb0EPKPK19rocblas_complex_numIfEPKPS1_S6_EviT3_lllT4_lllT5_li.num_agpr, 0
	.set _ZL20rocblas_trmvt_kernelILi512ELb0ELb0ELb0EPKPK19rocblas_complex_numIfEPKPS1_S6_EviT3_lllT4_lllT5_li.numbered_sgpr, 24
	.set _ZL20rocblas_trmvt_kernelILi512ELb0ELb0ELb0EPKPK19rocblas_complex_numIfEPKPS1_S6_EviT3_lllT4_lllT5_li.num_named_barrier, 0
	.set _ZL20rocblas_trmvt_kernelILi512ELb0ELb0ELb0EPKPK19rocblas_complex_numIfEPKPS1_S6_EviT3_lllT4_lllT5_li.private_seg_size, 0
	.set _ZL20rocblas_trmvt_kernelILi512ELb0ELb0ELb0EPKPK19rocblas_complex_numIfEPKPS1_S6_EviT3_lllT4_lllT5_li.uses_vcc, 1
	.set _ZL20rocblas_trmvt_kernelILi512ELb0ELb0ELb0EPKPK19rocblas_complex_numIfEPKPS1_S6_EviT3_lllT4_lllT5_li.uses_flat_scratch, 0
	.set _ZL20rocblas_trmvt_kernelILi512ELb0ELb0ELb0EPKPK19rocblas_complex_numIfEPKPS1_S6_EviT3_lllT4_lllT5_li.has_dyn_sized_stack, 0
	.set _ZL20rocblas_trmvt_kernelILi512ELb0ELb0ELb0EPKPK19rocblas_complex_numIfEPKPS1_S6_EviT3_lllT4_lllT5_li.has_recursion, 0
	.set _ZL20rocblas_trmvt_kernelILi512ELb0ELb0ELb0EPKPK19rocblas_complex_numIfEPKPS1_S6_EviT3_lllT4_lllT5_li.has_indirect_call, 0
	.section	.AMDGPU.csdata,"",@progbits
; Kernel info:
; codeLenInByte = 1252
; TotalNumSgprs: 26
; NumVgprs: 13
; ScratchSize: 0
; MemoryBound: 0
; FloatMode: 240
; IeeeMode: 1
; LDSByteSize: 256 bytes/workgroup (compile time only)
; SGPRBlocks: 0
; VGPRBlocks: 1
; NumSGPRsForWavesPerEU: 26
; NumVGPRsForWavesPerEU: 13
; Occupancy: 16
; WaveLimiterHint : 1
; COMPUTE_PGM_RSRC2:SCRATCH_EN: 0
; COMPUTE_PGM_RSRC2:USER_SGPR: 6
; COMPUTE_PGM_RSRC2:TRAP_HANDLER: 0
; COMPUTE_PGM_RSRC2:TGID_X_EN: 1
; COMPUTE_PGM_RSRC2:TGID_Y_EN: 0
; COMPUTE_PGM_RSRC2:TGID_Z_EN: 1
; COMPUTE_PGM_RSRC2:TIDIG_COMP_CNT: 0
	.section	.text._ZL20rocblas_trmvt_kernelILi512ELb0ELb1ELb0EPKPK19rocblas_complex_numIfEPKPS1_S6_EviT3_lllT4_lllT5_li,"axG",@progbits,_ZL20rocblas_trmvt_kernelILi512ELb0ELb1ELb0EPKPK19rocblas_complex_numIfEPKPS1_S6_EviT3_lllT4_lllT5_li,comdat
	.globl	_ZL20rocblas_trmvt_kernelILi512ELb0ELb1ELb0EPKPK19rocblas_complex_numIfEPKPS1_S6_EviT3_lllT4_lllT5_li ; -- Begin function _ZL20rocblas_trmvt_kernelILi512ELb0ELb1ELb0EPKPK19rocblas_complex_numIfEPKPS1_S6_EviT3_lllT4_lllT5_li
	.p2align	8
	.type	_ZL20rocblas_trmvt_kernelILi512ELb0ELb1ELb0EPKPK19rocblas_complex_numIfEPKPS1_S6_EviT3_lllT4_lllT5_li,@function
_ZL20rocblas_trmvt_kernelILi512ELb0ELb1ELb0EPKPK19rocblas_complex_numIfEPKPS1_S6_EviT3_lllT4_lllT5_li: ; @_ZL20rocblas_trmvt_kernelILi512ELb0ELb1ELb0EPKPK19rocblas_complex_numIfEPKPS1_S6_EviT3_lllT4_lllT5_li
; %bb.0:
	s_clause 0x1
	s_load_dwordx4 s[16:19], s[4:5], 0x8
	s_load_dword s14, s[4:5], 0x0
	s_mov_b32 s2, s7
	s_mov_b32 s3, 0
	s_load_dwordx2 s[22:23], s[4:5], 0x18
	s_lshl_b64 s[20:21], s[2:3], 3
	v_mov_b32_e32 v5, 0
	v_mov_b32_e32 v6, 0
	s_waitcnt lgkmcnt(0)
	s_add_u32 s0, s16, s20
	s_addc_u32 s1, s17, s21
	s_lshl_b64 s[18:19], s[18:19], 3
	s_load_dwordx2 s[16:17], s[0:1], 0x0
	s_clause 0x1
	s_load_dwordx4 s[8:11], s[4:5], 0x28
	s_load_dwordx2 s[12:13], s[4:5], 0x38
	v_cmp_gt_i32_e64 s0, s14, v0
	s_mul_hi_u32 s1, s22, s6
	s_mul_i32 s3, s23, s6
	v_cndmask_b32_e64 v1, 0, v0, s0
	v_lshlrev_b32_e32 v1, 3, v1
	s_waitcnt lgkmcnt(0)
	s_add_u32 s15, s16, s18
	s_addc_u32 s18, s17, s19
	s_add_u32 s8, s8, s20
	s_addc_u32 s9, s9, s21
	s_ashr_i32 s7, s6, 31
	s_load_dwordx2 s[8:9], s[8:9], 0x0
	s_mul_i32 s16, s22, s7
	s_add_i32 s1, s1, s16
	s_mul_i32 s16, s22, s6
	s_add_i32 s17, s1, s3
	v_add_co_u32 v1, s1, s15, v1
	v_add_co_ci_u32_e64 v2, null, s18, 0, s1
	s_lshl_b64 s[16:17], s[16:17], 3
	v_add_co_u32 v1, vcc_lo, v1, s16
	v_add_co_ci_u32_e64 v2, null, s17, v2, vcc_lo
	v_cmp_eq_u32_e32 vcc_lo, 0, v0
	s_and_saveexec_b32 s3, vcc_lo
	s_cbranch_execz .LBB77_2
; %bb.1:
	s_lshl_b64 s[16:17], s[10:11], 3
	s_mul_i32 s1, s12, s7
	s_waitcnt lgkmcnt(0)
	s_add_u32 s15, s8, s16
	s_mul_hi_u32 s16, s12, s6
	s_addc_u32 s20, s9, s17
	s_add_i32 s1, s16, s1
	s_mul_i32 s16, s13, s6
	s_lshl_b64 s[18:19], s[6:7], 3
	s_add_i32 s17, s1, s16
	s_mul_i32 s16, s12, s6
	v_add_co_u32 v3, s1, v1, s18
	s_lshl_b64 s[16:17], s[16:17], 3
	v_add_co_ci_u32_e64 v4, null, s19, v2, s1
	s_add_u32 s16, s15, s16
	s_addc_u32 s17, s20, s17
	v_mov_b32_e32 v5, s16
	v_mov_b32_e32 v6, s17
	flat_load_dwordx2 v[3:4], v[3:4]
	flat_load_dwordx2 v[5:6], v[5:6]
	s_waitcnt vmcnt(0) lgkmcnt(0)
	v_mul_f32_e32 v7, v4, v6
	v_mul_f32_e32 v4, v4, v5
	v_fmac_f32_e32 v7, v3, v5
	v_fma_f32 v3, v3, v6, -v4
	v_add_f32_e32 v5, 0, v7
	v_add_f32_e32 v6, 0, v3
.LBB77_2:
	s_or_b32 exec_lo, exec_lo, s3
	s_and_saveexec_b32 s3, s0
	s_cbranch_execz .LBB77_8
; %bb.3:
	v_mad_u64_u32 v[3:4], null, s12, v0, 0
	s_lshl_b64 s[0:1], s[10:11], 3
	s_mov_b32 s10, 0
	s_waitcnt lgkmcnt(0)
	s_add_u32 s0, s8, s0
	s_addc_u32 s1, s9, s1
	s_lshl_b64 s[8:9], s[12:13], 12
	v_mad_u64_u32 v[7:8], null, s13, v0, v[4:5]
	v_mov_b32_e32 v4, v7
	v_mov_b32_e32 v7, v0
	v_lshlrev_b64 v[3:4], 3, v[3:4]
	v_add_co_u32 v3, s0, s0, v3
	v_add_co_ci_u32_e64 v4, null, s1, v4, s0
	s_inst_prefetch 0x1
	s_branch .LBB77_5
	.p2align	6
.LBB77_4:                               ;   in Loop: Header=BB77_5 Depth=1
	s_or_b32 exec_lo, exec_lo, s1
	v_add_nc_u32_e32 v7, 0x200, v7
	v_add_co_u32 v3, s0, v3, s8
	v_add_co_ci_u32_e64 v4, null, s9, v4, s0
	v_cmp_le_i32_e64 s0, s14, v7
	v_add_co_u32 v1, s1, 0x1000, v1
	v_add_co_ci_u32_e64 v2, null, 0, v2, s1
	s_or_b32 s10, s0, s10
	s_andn2_b32 exec_lo, exec_lo, s10
	s_cbranch_execz .LBB77_7
.LBB77_5:                               ; =>This Inner Loop Header: Depth=1
	s_mov_b32 s1, exec_lo
	v_cmpx_gt_i32_e64 s6, v7
	s_cbranch_execz .LBB77_4
; %bb.6:                                ;   in Loop: Header=BB77_5 Depth=1
	flat_load_dwordx2 v[8:9], v[1:2]
	flat_load_dwordx2 v[10:11], v[3:4]
	s_waitcnt vmcnt(0) lgkmcnt(0)
	v_mul_f32_e32 v12, v9, v11
	v_mul_f32_e32 v9, v9, v10
	v_fmac_f32_e32 v12, v8, v10
	v_fma_f32 v8, v8, v11, -v9
	v_add_f32_e32 v5, v5, v12
	v_add_f32_e32 v6, v6, v8
	s_branch .LBB77_4
.LBB77_7:
	s_inst_prefetch 0x2
	s_or_b32 exec_lo, exec_lo, s10
.LBB77_8:
	s_or_b32 exec_lo, exec_lo, s3
	v_and_b32_e32 v1, 31, v0
	v_cmp_gt_u32_e64 s0, 32, v0
	v_lshlrev_b32_e32 v2, 3, v1
	s_and_saveexec_b32 s1, s0
; %bb.9:
	v_mov_b32_e32 v3, 0
	v_mov_b32_e32 v4, v3
	ds_write_b64 v2, v[3:4]
; %bb.10:
	s_or_b32 exec_lo, exec_lo, s1
	v_mbcnt_lo_u32_b32 v7, -1, 0
	s_mov_b32 s3, exec_lo
	s_waitcnt lgkmcnt(0)
	s_barrier
	buffer_gl0_inv
	v_lshl_or_b32 v3, v7, 2, 64
	v_cmp_gt_u32_e64 s1, 24, v7
	ds_bpermute_b32 v4, v3, v5
	ds_bpermute_b32 v8, v3, v6
	v_cndmask_b32_e64 v3, 0, 8, s1
	v_cmp_gt_u32_e64 s1, 28, v7
	v_add_lshl_u32 v3, v3, v7, 2
	s_waitcnt lgkmcnt(1)
	v_add_f32_e32 v5, v5, v4
	s_waitcnt lgkmcnt(0)
	v_add_f32_e32 v6, v6, v8
	v_cndmask_b32_e64 v4, 0, 4, s1
	v_cmp_gt_u32_e64 s1, 30, v7
	ds_bpermute_b32 v8, v3, v5
	ds_bpermute_b32 v9, v3, v6
	v_add_lshl_u32 v4, v4, v7, 2
	s_waitcnt lgkmcnt(1)
	v_add_f32_e32 v8, v5, v8
	s_waitcnt lgkmcnt(0)
	v_add_f32_e32 v6, v6, v9
	v_cndmask_b32_e64 v5, 0, 2, s1
	v_cmp_ne_u32_e64 s1, 31, v7
	ds_bpermute_b32 v9, v4, v8
	ds_bpermute_b32 v10, v4, v6
	v_add_lshl_u32 v5, v5, v7, 2
	s_waitcnt lgkmcnt(1)
	v_add_f32_e32 v8, v8, v9
	s_waitcnt lgkmcnt(0)
	v_add_f32_e32 v9, v6, v10
	v_add_co_ci_u32_e64 v6, null, 0, v7, s1
	ds_bpermute_b32 v10, v5, v8
	ds_bpermute_b32 v11, v5, v9
	v_lshlrev_b32_e32 v6, 2, v6
	s_waitcnt lgkmcnt(1)
	v_add_f32_e32 v7, v8, v10
	s_waitcnt lgkmcnt(0)
	v_add_f32_e32 v9, v9, v11
	ds_bpermute_b32 v8, v6, v7
	ds_bpermute_b32 v10, v6, v9
	v_cmpx_eq_u32_e32 0, v1
	s_cbranch_execz .LBB77_12
; %bb.11:
	v_lshrrev_b32_e32 v1, 2, v0
	s_waitcnt lgkmcnt(0)
	v_add_f32_e32 v9, v9, v10
	v_add_f32_e32 v8, v7, v8
	v_and_b32_e32 v1, 0x78, v1
	ds_write_b64 v1, v[8:9]
.LBB77_12:
	s_or_b32 exec_lo, exec_lo, s3
	v_cmp_gt_u32_e64 s1, 16, v0
	v_mov_b32_e32 v1, 0
	v_mov_b32_e32 v0, 0
	s_waitcnt lgkmcnt(0)
	s_barrier
	buffer_gl0_inv
	s_and_saveexec_b32 s3, s1
	s_cbranch_execnz .LBB77_16
; %bb.13:
	s_or_b32 exec_lo, exec_lo, s3
	s_and_saveexec_b32 s1, s0
	s_cbranch_execnz .LBB77_17
.LBB77_14:
	s_or_b32 exec_lo, exec_lo, s1
	s_and_saveexec_b32 s0, vcc_lo
	s_cbranch_execnz .LBB77_18
.LBB77_15:
	s_endpgm
.LBB77_16:
	ds_read_b64 v[0:1], v2
	s_or_b32 exec_lo, exec_lo, s3
	s_and_saveexec_b32 s1, s0
	s_cbranch_execz .LBB77_14
.LBB77_17:
	s_waitcnt lgkmcnt(0)
	ds_bpermute_b32 v2, v3, v0
	ds_bpermute_b32 v3, v3, v1
	s_waitcnt lgkmcnt(1)
	v_add_f32_e32 v0, v0, v2
	s_waitcnt lgkmcnt(0)
	v_add_f32_e32 v1, v1, v3
	ds_bpermute_b32 v2, v4, v0
	ds_bpermute_b32 v3, v4, v1
	s_waitcnt lgkmcnt(1)
	v_add_f32_e32 v0, v0, v2
	s_waitcnt lgkmcnt(0)
	v_add_f32_e32 v1, v1, v3
	;; [unrolled: 6-line block ×4, first 2 shown]
	s_or_b32 exec_lo, exec_lo, s1
	s_and_saveexec_b32 s0, vcc_lo
	s_cbranch_execz .LBB77_15
.LBB77_18:
	s_load_dwordx4 s[8:11], s[4:5], 0x48
	v_mov_b32_e32 v2, 0
	s_waitcnt lgkmcnt(0)
	s_mul_i32 s1, s11, s2
	s_mul_hi_u32 s3, s10, s2
	s_mul_i32 s0, s10, s2
	s_add_i32 s1, s3, s1
	s_lshl_b64 s[0:1], s[0:1], 3
	s_add_u32 s2, s8, s0
	s_addc_u32 s3, s9, s1
	s_lshl_b64 s[0:1], s[6:7], 3
	s_add_u32 s0, s2, s0
	s_addc_u32 s1, s3, s1
	global_store_dwordx2 v2, v[0:1], s[0:1]
	s_endpgm
	.section	.rodata,"a",@progbits
	.p2align	6, 0x0
	.amdhsa_kernel _ZL20rocblas_trmvt_kernelILi512ELb0ELb1ELb0EPKPK19rocblas_complex_numIfEPKPS1_S6_EviT3_lllT4_lllT5_li
		.amdhsa_group_segment_fixed_size 256
		.amdhsa_private_segment_fixed_size 0
		.amdhsa_kernarg_size 92
		.amdhsa_user_sgpr_count 6
		.amdhsa_user_sgpr_private_segment_buffer 1
		.amdhsa_user_sgpr_dispatch_ptr 0
		.amdhsa_user_sgpr_queue_ptr 0
		.amdhsa_user_sgpr_kernarg_segment_ptr 1
		.amdhsa_user_sgpr_dispatch_id 0
		.amdhsa_user_sgpr_flat_scratch_init 0
		.amdhsa_user_sgpr_private_segment_size 0
		.amdhsa_wavefront_size32 1
		.amdhsa_uses_dynamic_stack 0
		.amdhsa_system_sgpr_private_segment_wavefront_offset 0
		.amdhsa_system_sgpr_workgroup_id_x 1
		.amdhsa_system_sgpr_workgroup_id_y 0
		.amdhsa_system_sgpr_workgroup_id_z 1
		.amdhsa_system_sgpr_workgroup_info 0
		.amdhsa_system_vgpr_workitem_id 0
		.amdhsa_next_free_vgpr 13
		.amdhsa_next_free_sgpr 24
		.amdhsa_reserve_vcc 1
		.amdhsa_reserve_flat_scratch 0
		.amdhsa_float_round_mode_32 0
		.amdhsa_float_round_mode_16_64 0
		.amdhsa_float_denorm_mode_32 3
		.amdhsa_float_denorm_mode_16_64 3
		.amdhsa_dx10_clamp 1
		.amdhsa_ieee_mode 1
		.amdhsa_fp16_overflow 0
		.amdhsa_workgroup_processor_mode 1
		.amdhsa_memory_ordered 1
		.amdhsa_forward_progress 1
		.amdhsa_shared_vgpr_count 0
		.amdhsa_exception_fp_ieee_invalid_op 0
		.amdhsa_exception_fp_denorm_src 0
		.amdhsa_exception_fp_ieee_div_zero 0
		.amdhsa_exception_fp_ieee_overflow 0
		.amdhsa_exception_fp_ieee_underflow 0
		.amdhsa_exception_fp_ieee_inexact 0
		.amdhsa_exception_int_div_zero 0
	.end_amdhsa_kernel
	.section	.text._ZL20rocblas_trmvt_kernelILi512ELb0ELb1ELb0EPKPK19rocblas_complex_numIfEPKPS1_S6_EviT3_lllT4_lllT5_li,"axG",@progbits,_ZL20rocblas_trmvt_kernelILi512ELb0ELb1ELb0EPKPK19rocblas_complex_numIfEPKPS1_S6_EviT3_lllT4_lllT5_li,comdat
.Lfunc_end77:
	.size	_ZL20rocblas_trmvt_kernelILi512ELb0ELb1ELb0EPKPK19rocblas_complex_numIfEPKPS1_S6_EviT3_lllT4_lllT5_li, .Lfunc_end77-_ZL20rocblas_trmvt_kernelILi512ELb0ELb1ELb0EPKPK19rocblas_complex_numIfEPKPS1_S6_EviT3_lllT4_lllT5_li
                                        ; -- End function
	.set _ZL20rocblas_trmvt_kernelILi512ELb0ELb1ELb0EPKPK19rocblas_complex_numIfEPKPS1_S6_EviT3_lllT4_lllT5_li.num_vgpr, 13
	.set _ZL20rocblas_trmvt_kernelILi512ELb0ELb1ELb0EPKPK19rocblas_complex_numIfEPKPS1_S6_EviT3_lllT4_lllT5_li.num_agpr, 0
	.set _ZL20rocblas_trmvt_kernelILi512ELb0ELb1ELb0EPKPK19rocblas_complex_numIfEPKPS1_S6_EviT3_lllT4_lllT5_li.numbered_sgpr, 24
	.set _ZL20rocblas_trmvt_kernelILi512ELb0ELb1ELb0EPKPK19rocblas_complex_numIfEPKPS1_S6_EviT3_lllT4_lllT5_li.num_named_barrier, 0
	.set _ZL20rocblas_trmvt_kernelILi512ELb0ELb1ELb0EPKPK19rocblas_complex_numIfEPKPS1_S6_EviT3_lllT4_lllT5_li.private_seg_size, 0
	.set _ZL20rocblas_trmvt_kernelILi512ELb0ELb1ELb0EPKPK19rocblas_complex_numIfEPKPS1_S6_EviT3_lllT4_lllT5_li.uses_vcc, 1
	.set _ZL20rocblas_trmvt_kernelILi512ELb0ELb1ELb0EPKPK19rocblas_complex_numIfEPKPS1_S6_EviT3_lllT4_lllT5_li.uses_flat_scratch, 0
	.set _ZL20rocblas_trmvt_kernelILi512ELb0ELb1ELb0EPKPK19rocblas_complex_numIfEPKPS1_S6_EviT3_lllT4_lllT5_li.has_dyn_sized_stack, 0
	.set _ZL20rocblas_trmvt_kernelILi512ELb0ELb1ELb0EPKPK19rocblas_complex_numIfEPKPS1_S6_EviT3_lllT4_lllT5_li.has_recursion, 0
	.set _ZL20rocblas_trmvt_kernelILi512ELb0ELb1ELb0EPKPK19rocblas_complex_numIfEPKPS1_S6_EviT3_lllT4_lllT5_li.has_indirect_call, 0
	.section	.AMDGPU.csdata,"",@progbits
; Kernel info:
; codeLenInByte = 1252
; TotalNumSgprs: 26
; NumVgprs: 13
; ScratchSize: 0
; MemoryBound: 0
; FloatMode: 240
; IeeeMode: 1
; LDSByteSize: 256 bytes/workgroup (compile time only)
; SGPRBlocks: 0
; VGPRBlocks: 1
; NumSGPRsForWavesPerEU: 26
; NumVGPRsForWavesPerEU: 13
; Occupancy: 16
; WaveLimiterHint : 1
; COMPUTE_PGM_RSRC2:SCRATCH_EN: 0
; COMPUTE_PGM_RSRC2:USER_SGPR: 6
; COMPUTE_PGM_RSRC2:TRAP_HANDLER: 0
; COMPUTE_PGM_RSRC2:TGID_X_EN: 1
; COMPUTE_PGM_RSRC2:TGID_Y_EN: 0
; COMPUTE_PGM_RSRC2:TGID_Z_EN: 1
; COMPUTE_PGM_RSRC2:TIDIG_COMP_CNT: 0
	.section	.text._ZL20rocblas_trmvn_kernelILi64ELi16ELb1ELb1EPKPK19rocblas_complex_numIfEPKPS1_S6_EviT3_lllT4_lllT5_li,"axG",@progbits,_ZL20rocblas_trmvn_kernelILi64ELi16ELb1ELb1EPKPK19rocblas_complex_numIfEPKPS1_S6_EviT3_lllT4_lllT5_li,comdat
	.globl	_ZL20rocblas_trmvn_kernelILi64ELi16ELb1ELb1EPKPK19rocblas_complex_numIfEPKPS1_S6_EviT3_lllT4_lllT5_li ; -- Begin function _ZL20rocblas_trmvn_kernelILi64ELi16ELb1ELb1EPKPK19rocblas_complex_numIfEPKPS1_S6_EviT3_lllT4_lllT5_li
	.p2align	8
	.type	_ZL20rocblas_trmvn_kernelILi64ELi16ELb1ELb1EPKPK19rocblas_complex_numIfEPKPS1_S6_EviT3_lllT4_lllT5_li,@function
_ZL20rocblas_trmvn_kernelILi64ELi16ELb1ELb1EPKPK19rocblas_complex_numIfEPKPS1_S6_EviT3_lllT4_lllT5_li: ; @_ZL20rocblas_trmvn_kernelILi64ELi16ELb1ELb1EPKPK19rocblas_complex_numIfEPKPS1_S6_EviT3_lllT4_lllT5_li
; %bb.0:
	s_clause 0x1
	s_load_dwordx4 s[0:3], s[4:5], 0x8
	s_load_dwordx4 s[8:11], s[4:5], 0x28
	s_mov_b32 s12, s7
	s_mov_b32 s13, 0
	s_clause 0x1
	s_load_dword s18, s[4:5], 0x0
	s_load_dwordx2 s[14:15], s[4:5], 0x38
	s_lshl_b64 s[20:21], s[12:13], 3
	v_lshl_add_u32 v2, s6, 6, v0
	v_mov_b32_e32 v4, 0
	v_mov_b32_e32 v5, v4
	s_waitcnt lgkmcnt(0)
	s_add_u32 s16, s0, s20
	s_addc_u32 s17, s1, s21
	s_add_u32 s0, s8, s20
	s_addc_u32 s1, s9, s21
	v_cmp_gt_i32_e32 vcc_lo, s18, v2
	s_load_dwordx2 s[8:9], s[0:1], 0x0
	v_cmp_eq_u32_e64 s0, 0, v1
	s_and_b32 s0, s0, vcc_lo
	s_and_saveexec_b32 s1, s0
	s_cbranch_execz .LBB78_2
; %bb.1:
	v_ashrrev_i32_e32 v5, 31, v2
	v_mul_lo_u32 v6, s15, v2
	v_mad_u64_u32 v[3:4], null, s14, v2, 0
	s_lshl_b64 s[6:7], s[10:11], 3
	v_mul_lo_u32 v5, s14, v5
	s_waitcnt lgkmcnt(0)
	s_add_u32 s0, s8, s6
	s_addc_u32 s6, s9, s7
	v_add3_u32 v4, v4, v5, v6
	v_lshlrev_b64 v[3:4], 3, v[3:4]
	v_add_co_u32 v3, s0, s0, v3
	v_add_co_ci_u32_e64 v4, null, s6, v4, s0
	flat_load_dwordx2 v[4:5], v[3:4]
.LBB78_2:
	s_or_b32 exec_lo, exec_lo, s1
	s_load_dword s13, s[4:5], 0x6c
	s_mov_b32 s19, exec_lo
	v_cmpx_gt_i32_e64 s18, v1
	s_cbranch_execz .LBB78_8
; %bb.3:
	s_load_dwordx2 s[6:7], s[4:5], 0x18
	v_mad_u64_u32 v[8:9], null, s14, v1, 0
	s_load_dwordx2 s[16:17], s[16:17], 0x0
	s_lshl_b64 s[0:1], s[10:11], 3
	s_waitcnt lgkmcnt(0)
	s_add_u32 s8, s8, s0
	s_addc_u32 s9, s9, s1
	s_lshl_b64 s[0:1], s[2:3], 3
	s_lshl_b64 s[2:3], s[14:15], 7
	v_mad_u64_u32 v[6:7], null, s6, v1, 0
	v_mov_b32_e32 v3, v7
	s_waitcnt vmcnt(0)
	v_mad_u64_u32 v[10:11], null, s7, v1, v[3:4]
	v_mov_b32_e32 v3, v9
	s_lshl_b64 s[6:7], s[6:7], 7
	v_mov_b32_e32 v7, v10
	v_mad_u64_u32 v[9:10], null, s15, v1, v[3:4]
	v_ashrrev_i32_e32 v3, 31, v2
	v_lshlrev_b64 v[6:7], 3, v[6:7]
	v_lshlrev_b64 v[10:11], 3, v[2:3]
	v_add_co_u32 v3, s0, v6, s0
	v_add_co_ci_u32_e64 v12, null, s1, v7, s0
	v_lshlrev_b64 v[6:7], 3, v[8:9]
	v_add_co_u32 v3, s0, v3, v10
	v_add_co_ci_u32_e64 v9, null, v12, v11, s0
	v_add_co_u32 v6, s0, s8, v6
	v_add_co_ci_u32_e64 v7, null, s9, v7, s0
	;; [unrolled: 2-line block ×3, first 2 shown]
	v_mov_b32_e32 v3, v1
	s_mov_b32 s8, 0
	s_inst_prefetch 0x1
	s_branch .LBB78_5
	.p2align	6
.LBB78_4:                               ;   in Loop: Header=BB78_5 Depth=1
	s_or_b32 exec_lo, exec_lo, s0
	v_add_nc_u32_e32 v3, 16, v3
	v_add_co_u32 v6, s0, v6, s2
	v_add_co_ci_u32_e64 v7, null, s3, v7, s0
	v_cmp_le_i32_e64 s0, s18, v3
	v_add_co_u32 v8, s1, v8, s6
	v_add_co_ci_u32_e64 v9, null, s7, v9, s1
	s_or_b32 s8, s0, s8
	s_andn2_b32 exec_lo, exec_lo, s8
	s_cbranch_execz .LBB78_7
.LBB78_5:                               ; =>This Inner Loop Header: Depth=1
	v_cmp_lt_i32_e64 s0, v3, v2
	s_and_b32 s1, vcc_lo, s0
	s_and_saveexec_b32 s0, s1
	s_cbranch_execz .LBB78_4
; %bb.6:                                ;   in Loop: Header=BB78_5 Depth=1
	flat_load_dwordx2 v[10:11], v[8:9]
	flat_load_dwordx2 v[12:13], v[6:7]
	s_waitcnt vmcnt(0) lgkmcnt(0)
	v_mul_f32_e32 v14, v13, v11
	v_mul_f32_e32 v11, v12, v11
	v_fma_f32 v12, v12, v10, -v14
	v_fmac_f32_e32 v11, v13, v10
	v_add_f32_e32 v4, v4, v12
	v_add_f32_e32 v5, v5, v11
	s_branch .LBB78_4
.LBB78_7:
	s_inst_prefetch 0x2
	s_or_b32 exec_lo, exec_lo, s8
.LBB78_8:
	s_or_b32 exec_lo, exec_lo, s19
	v_lshlrev_b32_e32 v3, 3, v0
	s_waitcnt lgkmcnt(0)
	s_and_b32 s1, 0xffff, s13
	s_mov_b32 s2, exec_lo
	v_mad_u32_u24 v0, v1, s1, v0
	v_lshl_add_u32 v6, v1, 9, v3
	s_waitcnt vmcnt(0)
	ds_write_b64 v6, v[4:5]
	s_waitcnt lgkmcnt(0)
	s_barrier
	buffer_gl0_inv
	v_cmpx_gt_u32_e32 64, v0
	s_cbranch_execz .LBB78_11
; %bb.9:
	v_mul_u32_u24_e32 v0, s1, v1
	v_lshl_add_u32 v0, v0, 3, v3
	ds_read2st64_b64 v[3:6], v0 offset1:1
	ds_read2st64_b64 v[7:10], v0 offset0:2 offset1:3
	ds_read2st64_b64 v[11:14], v0 offset0:4 offset1:5
	s_waitcnt lgkmcnt(2)
	v_add_f32_e32 v1, v3, v5
	v_add_f32_e32 v15, v4, v6
	ds_read2st64_b64 v[3:6], v0 offset0:6 offset1:7
	s_waitcnt lgkmcnt(2)
	v_add_f32_e32 v1, v1, v7
	v_add_f32_e32 v7, v15, v8
	v_add_f32_e32 v1, v1, v9
	v_add_f32_e32 v15, v7, v10
	ds_read2st64_b64 v[7:10], v0 offset0:8 offset1:9
	s_waitcnt lgkmcnt(2)
	v_add_f32_e32 v1, v1, v11
	v_add_f32_e32 v11, v15, v12
	;; [unrolled: 6-line block ×5, first 2 shown]
	v_add_f32_e32 v1, v1, v13
	v_add_f32_e32 v11, v11, v14
	s_waitcnt lgkmcnt(1)
	v_add_f32_e32 v1, v1, v3
	v_add_f32_e32 v3, v11, v4
	v_add_f32_e32 v1, v1, v5
	v_add_f32_e32 v3, v3, v6
	s_waitcnt lgkmcnt(0)
	v_add_f32_e32 v1, v1, v7
	v_add_f32_e32 v4, v3, v8
	;; [unrolled: 1-line block ×4, first 2 shown]
	ds_write_b64 v0, v[3:4]
	s_and_b32 exec_lo, exec_lo, vcc_lo
	s_cbranch_execz .LBB78_11
; %bb.10:
	s_load_dwordx4 s[0:3], s[4:5], 0x48
	ds_read_b64 v[0:1], v0
	v_ashrrev_i32_e32 v3, 31, v2
	v_lshlrev_b64 v[2:3], 3, v[2:3]
	s_waitcnt lgkmcnt(0)
	s_mul_i32 s3, s3, s12
	s_mul_hi_u32 s4, s2, s12
	s_mul_i32 s2, s2, s12
	s_add_i32 s3, s4, s3
	s_lshl_b64 s[2:3], s[2:3], 3
	s_add_u32 s0, s0, s2
	s_addc_u32 s1, s1, s3
	v_add_co_u32 v2, vcc_lo, s0, v2
	v_add_co_ci_u32_e64 v3, null, s1, v3, vcc_lo
	global_store_dwordx2 v[2:3], v[0:1], off
.LBB78_11:
	s_endpgm
	.section	.rodata,"a",@progbits
	.p2align	6, 0x0
	.amdhsa_kernel _ZL20rocblas_trmvn_kernelILi64ELi16ELb1ELb1EPKPK19rocblas_complex_numIfEPKPS1_S6_EviT3_lllT4_lllT5_li
		.amdhsa_group_segment_fixed_size 8192
		.amdhsa_private_segment_fixed_size 0
		.amdhsa_kernarg_size 352
		.amdhsa_user_sgpr_count 6
		.amdhsa_user_sgpr_private_segment_buffer 1
		.amdhsa_user_sgpr_dispatch_ptr 0
		.amdhsa_user_sgpr_queue_ptr 0
		.amdhsa_user_sgpr_kernarg_segment_ptr 1
		.amdhsa_user_sgpr_dispatch_id 0
		.amdhsa_user_sgpr_flat_scratch_init 0
		.amdhsa_user_sgpr_private_segment_size 0
		.amdhsa_wavefront_size32 1
		.amdhsa_uses_dynamic_stack 0
		.amdhsa_system_sgpr_private_segment_wavefront_offset 0
		.amdhsa_system_sgpr_workgroup_id_x 1
		.amdhsa_system_sgpr_workgroup_id_y 0
		.amdhsa_system_sgpr_workgroup_id_z 1
		.amdhsa_system_sgpr_workgroup_info 0
		.amdhsa_system_vgpr_workitem_id 1
		.amdhsa_next_free_vgpr 16
		.amdhsa_next_free_sgpr 22
		.amdhsa_reserve_vcc 1
		.amdhsa_reserve_flat_scratch 0
		.amdhsa_float_round_mode_32 0
		.amdhsa_float_round_mode_16_64 0
		.amdhsa_float_denorm_mode_32 3
		.amdhsa_float_denorm_mode_16_64 3
		.amdhsa_dx10_clamp 1
		.amdhsa_ieee_mode 1
		.amdhsa_fp16_overflow 0
		.amdhsa_workgroup_processor_mode 1
		.amdhsa_memory_ordered 1
		.amdhsa_forward_progress 1
		.amdhsa_shared_vgpr_count 0
		.amdhsa_exception_fp_ieee_invalid_op 0
		.amdhsa_exception_fp_denorm_src 0
		.amdhsa_exception_fp_ieee_div_zero 0
		.amdhsa_exception_fp_ieee_overflow 0
		.amdhsa_exception_fp_ieee_underflow 0
		.amdhsa_exception_fp_ieee_inexact 0
		.amdhsa_exception_int_div_zero 0
	.end_amdhsa_kernel
	.section	.text._ZL20rocblas_trmvn_kernelILi64ELi16ELb1ELb1EPKPK19rocblas_complex_numIfEPKPS1_S6_EviT3_lllT4_lllT5_li,"axG",@progbits,_ZL20rocblas_trmvn_kernelILi64ELi16ELb1ELb1EPKPK19rocblas_complex_numIfEPKPS1_S6_EviT3_lllT4_lllT5_li,comdat
.Lfunc_end78:
	.size	_ZL20rocblas_trmvn_kernelILi64ELi16ELb1ELb1EPKPK19rocblas_complex_numIfEPKPS1_S6_EviT3_lllT4_lllT5_li, .Lfunc_end78-_ZL20rocblas_trmvn_kernelILi64ELi16ELb1ELb1EPKPK19rocblas_complex_numIfEPKPS1_S6_EviT3_lllT4_lllT5_li
                                        ; -- End function
	.set _ZL20rocblas_trmvn_kernelILi64ELi16ELb1ELb1EPKPK19rocblas_complex_numIfEPKPS1_S6_EviT3_lllT4_lllT5_li.num_vgpr, 16
	.set _ZL20rocblas_trmvn_kernelILi64ELi16ELb1ELb1EPKPK19rocblas_complex_numIfEPKPS1_S6_EviT3_lllT4_lllT5_li.num_agpr, 0
	.set _ZL20rocblas_trmvn_kernelILi64ELi16ELb1ELb1EPKPK19rocblas_complex_numIfEPKPS1_S6_EviT3_lllT4_lllT5_li.numbered_sgpr, 22
	.set _ZL20rocblas_trmvn_kernelILi64ELi16ELb1ELb1EPKPK19rocblas_complex_numIfEPKPS1_S6_EviT3_lllT4_lllT5_li.num_named_barrier, 0
	.set _ZL20rocblas_trmvn_kernelILi64ELi16ELb1ELb1EPKPK19rocblas_complex_numIfEPKPS1_S6_EviT3_lllT4_lllT5_li.private_seg_size, 0
	.set _ZL20rocblas_trmvn_kernelILi64ELi16ELb1ELb1EPKPK19rocblas_complex_numIfEPKPS1_S6_EviT3_lllT4_lllT5_li.uses_vcc, 1
	.set _ZL20rocblas_trmvn_kernelILi64ELi16ELb1ELb1EPKPK19rocblas_complex_numIfEPKPS1_S6_EviT3_lllT4_lllT5_li.uses_flat_scratch, 0
	.set _ZL20rocblas_trmvn_kernelILi64ELi16ELb1ELb1EPKPK19rocblas_complex_numIfEPKPS1_S6_EviT3_lllT4_lllT5_li.has_dyn_sized_stack, 0
	.set _ZL20rocblas_trmvn_kernelILi64ELi16ELb1ELb1EPKPK19rocblas_complex_numIfEPKPS1_S6_EviT3_lllT4_lllT5_li.has_recursion, 0
	.set _ZL20rocblas_trmvn_kernelILi64ELi16ELb1ELb1EPKPK19rocblas_complex_numIfEPKPS1_S6_EviT3_lllT4_lllT5_li.has_indirect_call, 0
	.section	.AMDGPU.csdata,"",@progbits
; Kernel info:
; codeLenInByte = 996
; TotalNumSgprs: 24
; NumVgprs: 16
; ScratchSize: 0
; MemoryBound: 0
; FloatMode: 240
; IeeeMode: 1
; LDSByteSize: 8192 bytes/workgroup (compile time only)
; SGPRBlocks: 0
; VGPRBlocks: 1
; NumSGPRsForWavesPerEU: 24
; NumVGPRsForWavesPerEU: 16
; Occupancy: 16
; WaveLimiterHint : 1
; COMPUTE_PGM_RSRC2:SCRATCH_EN: 0
; COMPUTE_PGM_RSRC2:USER_SGPR: 6
; COMPUTE_PGM_RSRC2:TRAP_HANDLER: 0
; COMPUTE_PGM_RSRC2:TGID_X_EN: 1
; COMPUTE_PGM_RSRC2:TGID_Y_EN: 0
; COMPUTE_PGM_RSRC2:TGID_Z_EN: 1
; COMPUTE_PGM_RSRC2:TIDIG_COMP_CNT: 1
	.section	.text._ZL20rocblas_trmvt_kernelILi512ELb1ELb0ELb1EPKPK19rocblas_complex_numIfEPKPS1_S6_EviT3_lllT4_lllT5_li,"axG",@progbits,_ZL20rocblas_trmvt_kernelILi512ELb1ELb0ELb1EPKPK19rocblas_complex_numIfEPKPS1_S6_EviT3_lllT4_lllT5_li,comdat
	.globl	_ZL20rocblas_trmvt_kernelILi512ELb1ELb0ELb1EPKPK19rocblas_complex_numIfEPKPS1_S6_EviT3_lllT4_lllT5_li ; -- Begin function _ZL20rocblas_trmvt_kernelILi512ELb1ELb0ELb1EPKPK19rocblas_complex_numIfEPKPS1_S6_EviT3_lllT4_lllT5_li
	.p2align	8
	.type	_ZL20rocblas_trmvt_kernelILi512ELb1ELb0ELb1EPKPK19rocblas_complex_numIfEPKPS1_S6_EviT3_lllT4_lllT5_li,@function
_ZL20rocblas_trmvt_kernelILi512ELb1ELb0ELb1EPKPK19rocblas_complex_numIfEPKPS1_S6_EviT3_lllT4_lllT5_li: ; @_ZL20rocblas_trmvt_kernelILi512ELb1ELb0ELb1EPKPK19rocblas_complex_numIfEPKPS1_S6_EviT3_lllT4_lllT5_li
; %bb.0:
	s_clause 0x1
	s_load_dwordx4 s[8:11], s[4:5], 0x8
	s_load_dwordx4 s[0:3], s[4:5], 0x28
	s_mov_b32 s12, s7
	s_mov_b32 s13, 0
	v_cmp_eq_u32_e32 vcc_lo, 0, v0
	s_lshl_b64 s[14:15], s[12:13], 3
	v_mov_b32_e32 v5, 0
	v_mov_b32_e32 v6, 0
	s_waitcnt lgkmcnt(0)
	s_add_u32 s16, s8, s14
	s_addc_u32 s17, s9, s15
	s_add_u32 s0, s0, s14
	s_addc_u32 s1, s1, s15
	s_load_dwordx2 s[8:9], s[4:5], 0x38
	s_load_dwordx2 s[14:15], s[0:1], 0x0
	s_ashr_i32 s7, s6, 31
	s_and_saveexec_b32 s0, vcc_lo
	s_cbranch_execz .LBB79_2
; %bb.1:
	s_lshl_b64 s[18:19], s[2:3], 3
	s_waitcnt lgkmcnt(0)
	s_mul_i32 s1, s8, s7
	s_add_u32 s13, s14, s18
	s_mul_hi_u32 s18, s8, s6
	s_addc_u32 s20, s15, s19
	s_add_i32 s1, s18, s1
	s_mul_i32 s18, s9, s6
	s_add_i32 s19, s1, s18
	s_mul_i32 s18, s8, s6
	s_lshl_b64 s[18:19], s[18:19], 3
	s_add_u32 s18, s13, s18
	s_addc_u32 s19, s20, s19
	v_mov_b32_e32 v1, s18
	v_mov_b32_e32 v2, s19
	flat_load_dwordx2 v[1:2], v[1:2]
	s_waitcnt vmcnt(0) lgkmcnt(0)
	v_add_f32_e32 v5, 0, v1
	v_add_f32_e32 v6, 0, v2
.LBB79_2:
	s_or_b32 exec_lo, exec_lo, s0
	s_load_dword s18, s[4:5], 0x0
	s_waitcnt lgkmcnt(0)
	v_cmp_gt_i32_e64 s0, s18, v0
	s_and_saveexec_b32 s13, s0
	s_cbranch_execz .LBB79_8
; %bb.3:
	s_load_dwordx2 s[16:17], s[16:17], 0x0
	s_load_dwordx2 s[20:21], s[4:5], 0x18
	v_mad_u64_u32 v[1:2], null, s8, v0, 0
	v_cndmask_b32_e64 v4, 0, v0, s0
	s_lshl_b64 s[0:1], s[10:11], 3
	v_mad_u64_u32 v[2:3], null, s9, v0, v[2:3]
	v_lshlrev_b32_e32 v3, 3, v4
	s_waitcnt lgkmcnt(0)
	s_add_u32 s10, s16, s0
	s_mul_i32 s11, s20, s7
	s_mul_hi_u32 s16, s20, s6
	s_mul_i32 s19, s21, s6
	s_addc_u32 s17, s17, s1
	s_add_i32 s1, s16, s11
	v_add_co_u32 v7, s10, s10, v3
	s_mul_i32 s0, s20, s6
	s_add_i32 s1, s1, s19
	v_add_co_ci_u32_e64 v8, null, s17, 0, s10
	s_lshl_b64 s[0:1], s[0:1], 3
	v_lshlrev_b64 v[3:4], 3, v[1:2]
	s_lshl_b64 s[2:3], s[2:3], 3
	v_add_co_u32 v1, s0, v7, s0
	v_add_co_ci_u32_e64 v2, null, s1, v8, s0
	s_add_u32 s0, s14, s2
	s_addc_u32 s1, s15, s3
	v_add_co_u32 v3, s0, s0, v3
	v_add_co_ci_u32_e64 v4, null, s1, v4, s0
	v_mov_b32_e32 v7, v0
	s_mov_b32 s10, 0
	s_lshl_b64 s[2:3], s[8:9], 12
	s_inst_prefetch 0x1
	s_branch .LBB79_5
	.p2align	6
.LBB79_4:                               ;   in Loop: Header=BB79_5 Depth=1
	s_or_b32 exec_lo, exec_lo, s1
	v_add_nc_u32_e32 v7, 0x200, v7
	v_add_co_u32 v1, s0, 0x1000, v1
	v_add_co_ci_u32_e64 v2, null, 0, v2, s0
	v_cmp_le_i32_e64 s0, s18, v7
	v_add_co_u32 v3, s1, v3, s2
	v_add_co_ci_u32_e64 v4, null, s3, v4, s1
	s_or_b32 s10, s0, s10
	s_andn2_b32 exec_lo, exec_lo, s10
	s_cbranch_execz .LBB79_7
.LBB79_5:                               ; =>This Inner Loop Header: Depth=1
	s_mov_b32 s1, exec_lo
	v_cmpx_lt_i32_e64 s6, v7
	s_cbranch_execz .LBB79_4
; %bb.6:                                ;   in Loop: Header=BB79_5 Depth=1
	flat_load_dwordx2 v[8:9], v[1:2]
	flat_load_dwordx2 v[10:11], v[3:4]
	s_waitcnt vmcnt(0) lgkmcnt(0)
	v_mul_f32_e32 v12, v11, v9
	v_mul_f32_e32 v9, v10, v9
	v_fma_f32 v10, v10, v8, -v12
	v_fmac_f32_e32 v9, v11, v8
	v_add_f32_e32 v5, v5, v10
	v_add_f32_e32 v6, v6, v9
	s_branch .LBB79_4
.LBB79_7:
	s_inst_prefetch 0x2
	s_or_b32 exec_lo, exec_lo, s10
.LBB79_8:
	s_or_b32 exec_lo, exec_lo, s13
	v_and_b32_e32 v1, 31, v0
	v_cmp_gt_u32_e64 s0, 32, v0
	v_lshlrev_b32_e32 v2, 3, v1
	s_and_saveexec_b32 s1, s0
; %bb.9:
	v_mov_b32_e32 v3, 0
	v_mov_b32_e32 v4, v3
	ds_write_b64 v2, v[3:4]
; %bb.10:
	s_or_b32 exec_lo, exec_lo, s1
	v_mbcnt_lo_u32_b32 v7, -1, 0
	s_mov_b32 s2, exec_lo
	s_waitcnt lgkmcnt(0)
	s_barrier
	buffer_gl0_inv
	v_lshl_or_b32 v3, v7, 2, 64
	v_cmp_gt_u32_e64 s1, 24, v7
	ds_bpermute_b32 v4, v3, v5
	ds_bpermute_b32 v8, v3, v6
	v_cndmask_b32_e64 v3, 0, 8, s1
	v_cmp_gt_u32_e64 s1, 28, v7
	v_add_lshl_u32 v3, v3, v7, 2
	s_waitcnt lgkmcnt(1)
	v_add_f32_e32 v5, v5, v4
	s_waitcnt lgkmcnt(0)
	v_add_f32_e32 v6, v6, v8
	v_cndmask_b32_e64 v4, 0, 4, s1
	v_cmp_gt_u32_e64 s1, 30, v7
	ds_bpermute_b32 v8, v3, v5
	ds_bpermute_b32 v9, v3, v6
	v_add_lshl_u32 v4, v4, v7, 2
	s_waitcnt lgkmcnt(1)
	v_add_f32_e32 v8, v5, v8
	s_waitcnt lgkmcnt(0)
	v_add_f32_e32 v6, v6, v9
	v_cndmask_b32_e64 v5, 0, 2, s1
	v_cmp_ne_u32_e64 s1, 31, v7
	ds_bpermute_b32 v9, v4, v8
	ds_bpermute_b32 v10, v4, v6
	v_add_lshl_u32 v5, v5, v7, 2
	s_waitcnt lgkmcnt(1)
	v_add_f32_e32 v8, v8, v9
	s_waitcnt lgkmcnt(0)
	v_add_f32_e32 v9, v6, v10
	v_add_co_ci_u32_e64 v6, null, 0, v7, s1
	ds_bpermute_b32 v10, v5, v8
	ds_bpermute_b32 v11, v5, v9
	v_lshlrev_b32_e32 v6, 2, v6
	s_waitcnt lgkmcnt(1)
	v_add_f32_e32 v7, v8, v10
	s_waitcnt lgkmcnt(0)
	v_add_f32_e32 v9, v9, v11
	ds_bpermute_b32 v8, v6, v7
	ds_bpermute_b32 v10, v6, v9
	v_cmpx_eq_u32_e32 0, v1
	s_cbranch_execz .LBB79_12
; %bb.11:
	v_lshrrev_b32_e32 v1, 2, v0
	s_waitcnt lgkmcnt(0)
	v_add_f32_e32 v9, v9, v10
	v_add_f32_e32 v8, v7, v8
	v_and_b32_e32 v1, 0x78, v1
	ds_write_b64 v1, v[8:9]
.LBB79_12:
	s_or_b32 exec_lo, exec_lo, s2
	v_cmp_gt_u32_e64 s1, 16, v0
	v_mov_b32_e32 v1, 0
	v_mov_b32_e32 v0, 0
	s_waitcnt lgkmcnt(0)
	s_barrier
	buffer_gl0_inv
	s_and_saveexec_b32 s2, s1
	s_cbranch_execnz .LBB79_16
; %bb.13:
	s_or_b32 exec_lo, exec_lo, s2
	s_and_saveexec_b32 s1, s0
	s_cbranch_execnz .LBB79_17
.LBB79_14:
	s_or_b32 exec_lo, exec_lo, s1
	s_and_saveexec_b32 s0, vcc_lo
	s_cbranch_execnz .LBB79_18
.LBB79_15:
	s_endpgm
.LBB79_16:
	ds_read_b64 v[0:1], v2
	s_or_b32 exec_lo, exec_lo, s2
	s_and_saveexec_b32 s1, s0
	s_cbranch_execz .LBB79_14
.LBB79_17:
	s_waitcnt lgkmcnt(0)
	ds_bpermute_b32 v2, v3, v0
	ds_bpermute_b32 v3, v3, v1
	s_waitcnt lgkmcnt(1)
	v_add_f32_e32 v0, v0, v2
	s_waitcnt lgkmcnt(0)
	v_add_f32_e32 v1, v1, v3
	ds_bpermute_b32 v2, v4, v0
	ds_bpermute_b32 v3, v4, v1
	s_waitcnt lgkmcnt(1)
	v_add_f32_e32 v0, v0, v2
	s_waitcnt lgkmcnt(0)
	v_add_f32_e32 v1, v1, v3
	;; [unrolled: 6-line block ×4, first 2 shown]
	s_or_b32 exec_lo, exec_lo, s1
	s_and_saveexec_b32 s0, vcc_lo
	s_cbranch_execz .LBB79_15
.LBB79_18:
	s_load_dwordx4 s[0:3], s[4:5], 0x48
	v_mov_b32_e32 v2, 0
	s_waitcnt lgkmcnt(0)
	s_mul_i32 s3, s3, s12
	s_mul_hi_u32 s4, s2, s12
	s_mul_i32 s2, s2, s12
	s_add_i32 s3, s4, s3
	s_lshl_b64 s[2:3], s[2:3], 3
	s_add_u32 s2, s0, s2
	s_addc_u32 s3, s1, s3
	s_lshl_b64 s[0:1], s[6:7], 3
	s_add_u32 s0, s2, s0
	s_addc_u32 s1, s3, s1
	global_store_dwordx2 v2, v[0:1], s[0:1]
	s_endpgm
	.section	.rodata,"a",@progbits
	.p2align	6, 0x0
	.amdhsa_kernel _ZL20rocblas_trmvt_kernelILi512ELb1ELb0ELb1EPKPK19rocblas_complex_numIfEPKPS1_S6_EviT3_lllT4_lllT5_li
		.amdhsa_group_segment_fixed_size 256
		.amdhsa_private_segment_fixed_size 0
		.amdhsa_kernarg_size 92
		.amdhsa_user_sgpr_count 6
		.amdhsa_user_sgpr_private_segment_buffer 1
		.amdhsa_user_sgpr_dispatch_ptr 0
		.amdhsa_user_sgpr_queue_ptr 0
		.amdhsa_user_sgpr_kernarg_segment_ptr 1
		.amdhsa_user_sgpr_dispatch_id 0
		.amdhsa_user_sgpr_flat_scratch_init 0
		.amdhsa_user_sgpr_private_segment_size 0
		.amdhsa_wavefront_size32 1
		.amdhsa_uses_dynamic_stack 0
		.amdhsa_system_sgpr_private_segment_wavefront_offset 0
		.amdhsa_system_sgpr_workgroup_id_x 1
		.amdhsa_system_sgpr_workgroup_id_y 0
		.amdhsa_system_sgpr_workgroup_id_z 1
		.amdhsa_system_sgpr_workgroup_info 0
		.amdhsa_system_vgpr_workitem_id 0
		.amdhsa_next_free_vgpr 13
		.amdhsa_next_free_sgpr 22
		.amdhsa_reserve_vcc 1
		.amdhsa_reserve_flat_scratch 0
		.amdhsa_float_round_mode_32 0
		.amdhsa_float_round_mode_16_64 0
		.amdhsa_float_denorm_mode_32 3
		.amdhsa_float_denorm_mode_16_64 3
		.amdhsa_dx10_clamp 1
		.amdhsa_ieee_mode 1
		.amdhsa_fp16_overflow 0
		.amdhsa_workgroup_processor_mode 1
		.amdhsa_memory_ordered 1
		.amdhsa_forward_progress 1
		.amdhsa_shared_vgpr_count 0
		.amdhsa_exception_fp_ieee_invalid_op 0
		.amdhsa_exception_fp_denorm_src 0
		.amdhsa_exception_fp_ieee_div_zero 0
		.amdhsa_exception_fp_ieee_overflow 0
		.amdhsa_exception_fp_ieee_underflow 0
		.amdhsa_exception_fp_ieee_inexact 0
		.amdhsa_exception_int_div_zero 0
	.end_amdhsa_kernel
	.section	.text._ZL20rocblas_trmvt_kernelILi512ELb1ELb0ELb1EPKPK19rocblas_complex_numIfEPKPS1_S6_EviT3_lllT4_lllT5_li,"axG",@progbits,_ZL20rocblas_trmvt_kernelILi512ELb1ELb0ELb1EPKPK19rocblas_complex_numIfEPKPS1_S6_EviT3_lllT4_lllT5_li,comdat
.Lfunc_end79:
	.size	_ZL20rocblas_trmvt_kernelILi512ELb1ELb0ELb1EPKPK19rocblas_complex_numIfEPKPS1_S6_EviT3_lllT4_lllT5_li, .Lfunc_end79-_ZL20rocblas_trmvt_kernelILi512ELb1ELb0ELb1EPKPK19rocblas_complex_numIfEPKPS1_S6_EviT3_lllT4_lllT5_li
                                        ; -- End function
	.set _ZL20rocblas_trmvt_kernelILi512ELb1ELb0ELb1EPKPK19rocblas_complex_numIfEPKPS1_S6_EviT3_lllT4_lllT5_li.num_vgpr, 13
	.set _ZL20rocblas_trmvt_kernelILi512ELb1ELb0ELb1EPKPK19rocblas_complex_numIfEPKPS1_S6_EviT3_lllT4_lllT5_li.num_agpr, 0
	.set _ZL20rocblas_trmvt_kernelILi512ELb1ELb0ELb1EPKPK19rocblas_complex_numIfEPKPS1_S6_EviT3_lllT4_lllT5_li.numbered_sgpr, 22
	.set _ZL20rocblas_trmvt_kernelILi512ELb1ELb0ELb1EPKPK19rocblas_complex_numIfEPKPS1_S6_EviT3_lllT4_lllT5_li.num_named_barrier, 0
	.set _ZL20rocblas_trmvt_kernelILi512ELb1ELb0ELb1EPKPK19rocblas_complex_numIfEPKPS1_S6_EviT3_lllT4_lllT5_li.private_seg_size, 0
	.set _ZL20rocblas_trmvt_kernelILi512ELb1ELb0ELb1EPKPK19rocblas_complex_numIfEPKPS1_S6_EviT3_lllT4_lllT5_li.uses_vcc, 1
	.set _ZL20rocblas_trmvt_kernelILi512ELb1ELb0ELb1EPKPK19rocblas_complex_numIfEPKPS1_S6_EviT3_lllT4_lllT5_li.uses_flat_scratch, 0
	.set _ZL20rocblas_trmvt_kernelILi512ELb1ELb0ELb1EPKPK19rocblas_complex_numIfEPKPS1_S6_EviT3_lllT4_lllT5_li.has_dyn_sized_stack, 0
	.set _ZL20rocblas_trmvt_kernelILi512ELb1ELb0ELb1EPKPK19rocblas_complex_numIfEPKPS1_S6_EviT3_lllT4_lllT5_li.has_recursion, 0
	.set _ZL20rocblas_trmvt_kernelILi512ELb1ELb0ELb1EPKPK19rocblas_complex_numIfEPKPS1_S6_EviT3_lllT4_lllT5_li.has_indirect_call, 0
	.section	.AMDGPU.csdata,"",@progbits
; Kernel info:
; codeLenInByte = 1188
; TotalNumSgprs: 24
; NumVgprs: 13
; ScratchSize: 0
; MemoryBound: 0
; FloatMode: 240
; IeeeMode: 1
; LDSByteSize: 256 bytes/workgroup (compile time only)
; SGPRBlocks: 0
; VGPRBlocks: 1
; NumSGPRsForWavesPerEU: 24
; NumVGPRsForWavesPerEU: 13
; Occupancy: 16
; WaveLimiterHint : 1
; COMPUTE_PGM_RSRC2:SCRATCH_EN: 0
; COMPUTE_PGM_RSRC2:USER_SGPR: 6
; COMPUTE_PGM_RSRC2:TRAP_HANDLER: 0
; COMPUTE_PGM_RSRC2:TGID_X_EN: 1
; COMPUTE_PGM_RSRC2:TGID_Y_EN: 0
; COMPUTE_PGM_RSRC2:TGID_Z_EN: 1
; COMPUTE_PGM_RSRC2:TIDIG_COMP_CNT: 0
	.section	.text._ZL20rocblas_trmvt_kernelILi512ELb1ELb1ELb1EPKPK19rocblas_complex_numIfEPKPS1_S6_EviT3_lllT4_lllT5_li,"axG",@progbits,_ZL20rocblas_trmvt_kernelILi512ELb1ELb1ELb1EPKPK19rocblas_complex_numIfEPKPS1_S6_EviT3_lllT4_lllT5_li,comdat
	.globl	_ZL20rocblas_trmvt_kernelILi512ELb1ELb1ELb1EPKPK19rocblas_complex_numIfEPKPS1_S6_EviT3_lllT4_lllT5_li ; -- Begin function _ZL20rocblas_trmvt_kernelILi512ELb1ELb1ELb1EPKPK19rocblas_complex_numIfEPKPS1_S6_EviT3_lllT4_lllT5_li
	.p2align	8
	.type	_ZL20rocblas_trmvt_kernelILi512ELb1ELb1ELb1EPKPK19rocblas_complex_numIfEPKPS1_S6_EviT3_lllT4_lllT5_li,@function
_ZL20rocblas_trmvt_kernelILi512ELb1ELb1ELb1EPKPK19rocblas_complex_numIfEPKPS1_S6_EviT3_lllT4_lllT5_li: ; @_ZL20rocblas_trmvt_kernelILi512ELb1ELb1ELb1EPKPK19rocblas_complex_numIfEPKPS1_S6_EviT3_lllT4_lllT5_li
; %bb.0:
	s_clause 0x1
	s_load_dwordx4 s[8:11], s[4:5], 0x8
	s_load_dwordx4 s[0:3], s[4:5], 0x28
	s_mov_b32 s12, s7
	s_mov_b32 s13, 0
	v_cmp_eq_u32_e32 vcc_lo, 0, v0
	s_lshl_b64 s[14:15], s[12:13], 3
	v_mov_b32_e32 v5, 0
	v_mov_b32_e32 v6, 0
	s_waitcnt lgkmcnt(0)
	s_add_u32 s16, s8, s14
	s_addc_u32 s17, s9, s15
	s_add_u32 s0, s0, s14
	s_addc_u32 s1, s1, s15
	s_load_dwordx2 s[8:9], s[4:5], 0x38
	s_load_dwordx2 s[14:15], s[0:1], 0x0
	s_ashr_i32 s7, s6, 31
	s_and_saveexec_b32 s0, vcc_lo
	s_cbranch_execz .LBB80_2
; %bb.1:
	s_lshl_b64 s[18:19], s[2:3], 3
	s_waitcnt lgkmcnt(0)
	s_mul_i32 s1, s8, s7
	s_add_u32 s13, s14, s18
	s_mul_hi_u32 s18, s8, s6
	s_addc_u32 s20, s15, s19
	s_add_i32 s1, s18, s1
	s_mul_i32 s18, s9, s6
	s_add_i32 s19, s1, s18
	s_mul_i32 s18, s8, s6
	s_lshl_b64 s[18:19], s[18:19], 3
	s_add_u32 s18, s13, s18
	s_addc_u32 s19, s20, s19
	v_mov_b32_e32 v1, s18
	v_mov_b32_e32 v2, s19
	flat_load_dwordx2 v[1:2], v[1:2]
	s_waitcnt vmcnt(0) lgkmcnt(0)
	v_add_f32_e32 v5, 0, v1
	v_add_f32_e32 v6, 0, v2
.LBB80_2:
	s_or_b32 exec_lo, exec_lo, s0
	s_load_dword s18, s[4:5], 0x0
	s_waitcnt lgkmcnt(0)
	v_cmp_gt_i32_e64 s0, s18, v0
	s_and_saveexec_b32 s13, s0
	s_cbranch_execz .LBB80_8
; %bb.3:
	s_load_dwordx2 s[16:17], s[16:17], 0x0
	s_load_dwordx2 s[20:21], s[4:5], 0x18
	v_mad_u64_u32 v[1:2], null, s8, v0, 0
	v_cndmask_b32_e64 v4, 0, v0, s0
	s_lshl_b64 s[0:1], s[10:11], 3
	v_mad_u64_u32 v[2:3], null, s9, v0, v[2:3]
	v_lshlrev_b32_e32 v3, 3, v4
	s_waitcnt lgkmcnt(0)
	s_add_u32 s10, s16, s0
	s_mul_i32 s11, s20, s7
	s_mul_hi_u32 s16, s20, s6
	s_mul_i32 s19, s21, s6
	s_addc_u32 s17, s17, s1
	s_add_i32 s1, s16, s11
	v_add_co_u32 v7, s10, s10, v3
	s_mul_i32 s0, s20, s6
	s_add_i32 s1, s1, s19
	v_add_co_ci_u32_e64 v8, null, s17, 0, s10
	s_lshl_b64 s[0:1], s[0:1], 3
	v_lshlrev_b64 v[3:4], 3, v[1:2]
	s_lshl_b64 s[2:3], s[2:3], 3
	v_add_co_u32 v1, s0, v7, s0
	v_add_co_ci_u32_e64 v2, null, s1, v8, s0
	s_add_u32 s0, s14, s2
	s_addc_u32 s1, s15, s3
	v_add_co_u32 v3, s0, s0, v3
	v_add_co_ci_u32_e64 v4, null, s1, v4, s0
	v_mov_b32_e32 v7, v0
	s_mov_b32 s10, 0
	s_lshl_b64 s[2:3], s[8:9], 12
	s_inst_prefetch 0x1
	s_branch .LBB80_5
	.p2align	6
.LBB80_4:                               ;   in Loop: Header=BB80_5 Depth=1
	s_or_b32 exec_lo, exec_lo, s1
	v_add_nc_u32_e32 v7, 0x200, v7
	v_add_co_u32 v3, s0, v3, s2
	v_add_co_ci_u32_e64 v4, null, s3, v4, s0
	v_cmp_le_i32_e64 s0, s18, v7
	v_add_co_u32 v1, s1, 0x1000, v1
	v_add_co_ci_u32_e64 v2, null, 0, v2, s1
	s_or_b32 s10, s0, s10
	s_andn2_b32 exec_lo, exec_lo, s10
	s_cbranch_execz .LBB80_7
.LBB80_5:                               ; =>This Inner Loop Header: Depth=1
	s_mov_b32 s1, exec_lo
	v_cmpx_lt_i32_e64 s6, v7
	s_cbranch_execz .LBB80_4
; %bb.6:                                ;   in Loop: Header=BB80_5 Depth=1
	flat_load_dwordx2 v[8:9], v[1:2]
	flat_load_dwordx2 v[10:11], v[3:4]
	s_waitcnt vmcnt(0) lgkmcnt(0)
	v_mul_f32_e32 v12, v9, v11
	v_mul_f32_e32 v9, v9, v10
	v_fmac_f32_e32 v12, v8, v10
	v_fma_f32 v8, v8, v11, -v9
	v_add_f32_e32 v5, v5, v12
	v_add_f32_e32 v6, v6, v8
	s_branch .LBB80_4
.LBB80_7:
	s_inst_prefetch 0x2
	s_or_b32 exec_lo, exec_lo, s10
.LBB80_8:
	s_or_b32 exec_lo, exec_lo, s13
	v_and_b32_e32 v1, 31, v0
	v_cmp_gt_u32_e64 s0, 32, v0
	v_lshlrev_b32_e32 v2, 3, v1
	s_and_saveexec_b32 s1, s0
; %bb.9:
	v_mov_b32_e32 v3, 0
	v_mov_b32_e32 v4, v3
	ds_write_b64 v2, v[3:4]
; %bb.10:
	s_or_b32 exec_lo, exec_lo, s1
	v_mbcnt_lo_u32_b32 v7, -1, 0
	s_mov_b32 s2, exec_lo
	s_waitcnt lgkmcnt(0)
	s_barrier
	buffer_gl0_inv
	v_lshl_or_b32 v3, v7, 2, 64
	v_cmp_gt_u32_e64 s1, 24, v7
	ds_bpermute_b32 v4, v3, v5
	ds_bpermute_b32 v8, v3, v6
	v_cndmask_b32_e64 v3, 0, 8, s1
	v_cmp_gt_u32_e64 s1, 28, v7
	v_add_lshl_u32 v3, v3, v7, 2
	s_waitcnt lgkmcnt(1)
	v_add_f32_e32 v5, v5, v4
	s_waitcnt lgkmcnt(0)
	v_add_f32_e32 v6, v6, v8
	v_cndmask_b32_e64 v4, 0, 4, s1
	v_cmp_gt_u32_e64 s1, 30, v7
	ds_bpermute_b32 v8, v3, v5
	ds_bpermute_b32 v9, v3, v6
	v_add_lshl_u32 v4, v4, v7, 2
	s_waitcnt lgkmcnt(1)
	v_add_f32_e32 v8, v5, v8
	s_waitcnt lgkmcnt(0)
	v_add_f32_e32 v6, v6, v9
	v_cndmask_b32_e64 v5, 0, 2, s1
	v_cmp_ne_u32_e64 s1, 31, v7
	ds_bpermute_b32 v9, v4, v8
	ds_bpermute_b32 v10, v4, v6
	v_add_lshl_u32 v5, v5, v7, 2
	s_waitcnt lgkmcnt(1)
	v_add_f32_e32 v8, v8, v9
	s_waitcnt lgkmcnt(0)
	v_add_f32_e32 v9, v6, v10
	v_add_co_ci_u32_e64 v6, null, 0, v7, s1
	ds_bpermute_b32 v10, v5, v8
	ds_bpermute_b32 v11, v5, v9
	v_lshlrev_b32_e32 v6, 2, v6
	s_waitcnt lgkmcnt(1)
	v_add_f32_e32 v7, v8, v10
	s_waitcnt lgkmcnt(0)
	v_add_f32_e32 v9, v9, v11
	ds_bpermute_b32 v8, v6, v7
	ds_bpermute_b32 v10, v6, v9
	v_cmpx_eq_u32_e32 0, v1
	s_cbranch_execz .LBB80_12
; %bb.11:
	v_lshrrev_b32_e32 v1, 2, v0
	s_waitcnt lgkmcnt(0)
	v_add_f32_e32 v9, v9, v10
	v_add_f32_e32 v8, v7, v8
	v_and_b32_e32 v1, 0x78, v1
	ds_write_b64 v1, v[8:9]
.LBB80_12:
	s_or_b32 exec_lo, exec_lo, s2
	v_cmp_gt_u32_e64 s1, 16, v0
	v_mov_b32_e32 v1, 0
	v_mov_b32_e32 v0, 0
	s_waitcnt lgkmcnt(0)
	s_barrier
	buffer_gl0_inv
	s_and_saveexec_b32 s2, s1
	s_cbranch_execnz .LBB80_16
; %bb.13:
	s_or_b32 exec_lo, exec_lo, s2
	s_and_saveexec_b32 s1, s0
	s_cbranch_execnz .LBB80_17
.LBB80_14:
	s_or_b32 exec_lo, exec_lo, s1
	s_and_saveexec_b32 s0, vcc_lo
	s_cbranch_execnz .LBB80_18
.LBB80_15:
	s_endpgm
.LBB80_16:
	ds_read_b64 v[0:1], v2
	s_or_b32 exec_lo, exec_lo, s2
	s_and_saveexec_b32 s1, s0
	s_cbranch_execz .LBB80_14
.LBB80_17:
	s_waitcnt lgkmcnt(0)
	ds_bpermute_b32 v2, v3, v0
	ds_bpermute_b32 v3, v3, v1
	s_waitcnt lgkmcnt(1)
	v_add_f32_e32 v0, v0, v2
	s_waitcnt lgkmcnt(0)
	v_add_f32_e32 v1, v1, v3
	ds_bpermute_b32 v2, v4, v0
	ds_bpermute_b32 v3, v4, v1
	s_waitcnt lgkmcnt(1)
	v_add_f32_e32 v0, v0, v2
	s_waitcnt lgkmcnt(0)
	v_add_f32_e32 v1, v1, v3
	;; [unrolled: 6-line block ×4, first 2 shown]
	s_or_b32 exec_lo, exec_lo, s1
	s_and_saveexec_b32 s0, vcc_lo
	s_cbranch_execz .LBB80_15
.LBB80_18:
	s_load_dwordx4 s[0:3], s[4:5], 0x48
	v_mov_b32_e32 v2, 0
	s_waitcnt lgkmcnt(0)
	s_mul_i32 s3, s3, s12
	s_mul_hi_u32 s4, s2, s12
	s_mul_i32 s2, s2, s12
	s_add_i32 s3, s4, s3
	s_lshl_b64 s[2:3], s[2:3], 3
	s_add_u32 s2, s0, s2
	s_addc_u32 s3, s1, s3
	s_lshl_b64 s[0:1], s[6:7], 3
	s_add_u32 s0, s2, s0
	s_addc_u32 s1, s3, s1
	global_store_dwordx2 v2, v[0:1], s[0:1]
	s_endpgm
	.section	.rodata,"a",@progbits
	.p2align	6, 0x0
	.amdhsa_kernel _ZL20rocblas_trmvt_kernelILi512ELb1ELb1ELb1EPKPK19rocblas_complex_numIfEPKPS1_S6_EviT3_lllT4_lllT5_li
		.amdhsa_group_segment_fixed_size 256
		.amdhsa_private_segment_fixed_size 0
		.amdhsa_kernarg_size 92
		.amdhsa_user_sgpr_count 6
		.amdhsa_user_sgpr_private_segment_buffer 1
		.amdhsa_user_sgpr_dispatch_ptr 0
		.amdhsa_user_sgpr_queue_ptr 0
		.amdhsa_user_sgpr_kernarg_segment_ptr 1
		.amdhsa_user_sgpr_dispatch_id 0
		.amdhsa_user_sgpr_flat_scratch_init 0
		.amdhsa_user_sgpr_private_segment_size 0
		.amdhsa_wavefront_size32 1
		.amdhsa_uses_dynamic_stack 0
		.amdhsa_system_sgpr_private_segment_wavefront_offset 0
		.amdhsa_system_sgpr_workgroup_id_x 1
		.amdhsa_system_sgpr_workgroup_id_y 0
		.amdhsa_system_sgpr_workgroup_id_z 1
		.amdhsa_system_sgpr_workgroup_info 0
		.amdhsa_system_vgpr_workitem_id 0
		.amdhsa_next_free_vgpr 13
		.amdhsa_next_free_sgpr 22
		.amdhsa_reserve_vcc 1
		.amdhsa_reserve_flat_scratch 0
		.amdhsa_float_round_mode_32 0
		.amdhsa_float_round_mode_16_64 0
		.amdhsa_float_denorm_mode_32 3
		.amdhsa_float_denorm_mode_16_64 3
		.amdhsa_dx10_clamp 1
		.amdhsa_ieee_mode 1
		.amdhsa_fp16_overflow 0
		.amdhsa_workgroup_processor_mode 1
		.amdhsa_memory_ordered 1
		.amdhsa_forward_progress 1
		.amdhsa_shared_vgpr_count 0
		.amdhsa_exception_fp_ieee_invalid_op 0
		.amdhsa_exception_fp_denorm_src 0
		.amdhsa_exception_fp_ieee_div_zero 0
		.amdhsa_exception_fp_ieee_overflow 0
		.amdhsa_exception_fp_ieee_underflow 0
		.amdhsa_exception_fp_ieee_inexact 0
		.amdhsa_exception_int_div_zero 0
	.end_amdhsa_kernel
	.section	.text._ZL20rocblas_trmvt_kernelILi512ELb1ELb1ELb1EPKPK19rocblas_complex_numIfEPKPS1_S6_EviT3_lllT4_lllT5_li,"axG",@progbits,_ZL20rocblas_trmvt_kernelILi512ELb1ELb1ELb1EPKPK19rocblas_complex_numIfEPKPS1_S6_EviT3_lllT4_lllT5_li,comdat
.Lfunc_end80:
	.size	_ZL20rocblas_trmvt_kernelILi512ELb1ELb1ELb1EPKPK19rocblas_complex_numIfEPKPS1_S6_EviT3_lllT4_lllT5_li, .Lfunc_end80-_ZL20rocblas_trmvt_kernelILi512ELb1ELb1ELb1EPKPK19rocblas_complex_numIfEPKPS1_S6_EviT3_lllT4_lllT5_li
                                        ; -- End function
	.set _ZL20rocblas_trmvt_kernelILi512ELb1ELb1ELb1EPKPK19rocblas_complex_numIfEPKPS1_S6_EviT3_lllT4_lllT5_li.num_vgpr, 13
	.set _ZL20rocblas_trmvt_kernelILi512ELb1ELb1ELb1EPKPK19rocblas_complex_numIfEPKPS1_S6_EviT3_lllT4_lllT5_li.num_agpr, 0
	.set _ZL20rocblas_trmvt_kernelILi512ELb1ELb1ELb1EPKPK19rocblas_complex_numIfEPKPS1_S6_EviT3_lllT4_lllT5_li.numbered_sgpr, 22
	.set _ZL20rocblas_trmvt_kernelILi512ELb1ELb1ELb1EPKPK19rocblas_complex_numIfEPKPS1_S6_EviT3_lllT4_lllT5_li.num_named_barrier, 0
	.set _ZL20rocblas_trmvt_kernelILi512ELb1ELb1ELb1EPKPK19rocblas_complex_numIfEPKPS1_S6_EviT3_lllT4_lllT5_li.private_seg_size, 0
	.set _ZL20rocblas_trmvt_kernelILi512ELb1ELb1ELb1EPKPK19rocblas_complex_numIfEPKPS1_S6_EviT3_lllT4_lllT5_li.uses_vcc, 1
	.set _ZL20rocblas_trmvt_kernelILi512ELb1ELb1ELb1EPKPK19rocblas_complex_numIfEPKPS1_S6_EviT3_lllT4_lllT5_li.uses_flat_scratch, 0
	.set _ZL20rocblas_trmvt_kernelILi512ELb1ELb1ELb1EPKPK19rocblas_complex_numIfEPKPS1_S6_EviT3_lllT4_lllT5_li.has_dyn_sized_stack, 0
	.set _ZL20rocblas_trmvt_kernelILi512ELb1ELb1ELb1EPKPK19rocblas_complex_numIfEPKPS1_S6_EviT3_lllT4_lllT5_li.has_recursion, 0
	.set _ZL20rocblas_trmvt_kernelILi512ELb1ELb1ELb1EPKPK19rocblas_complex_numIfEPKPS1_S6_EviT3_lllT4_lllT5_li.has_indirect_call, 0
	.section	.AMDGPU.csdata,"",@progbits
; Kernel info:
; codeLenInByte = 1188
; TotalNumSgprs: 24
; NumVgprs: 13
; ScratchSize: 0
; MemoryBound: 0
; FloatMode: 240
; IeeeMode: 1
; LDSByteSize: 256 bytes/workgroup (compile time only)
; SGPRBlocks: 0
; VGPRBlocks: 1
; NumSGPRsForWavesPerEU: 24
; NumVGPRsForWavesPerEU: 13
; Occupancy: 16
; WaveLimiterHint : 1
; COMPUTE_PGM_RSRC2:SCRATCH_EN: 0
; COMPUTE_PGM_RSRC2:USER_SGPR: 6
; COMPUTE_PGM_RSRC2:TRAP_HANDLER: 0
; COMPUTE_PGM_RSRC2:TGID_X_EN: 1
; COMPUTE_PGM_RSRC2:TGID_Y_EN: 0
; COMPUTE_PGM_RSRC2:TGID_Z_EN: 1
; COMPUTE_PGM_RSRC2:TIDIG_COMP_CNT: 0
	.section	.text._ZL20rocblas_trmvn_kernelILi64ELi16ELb1ELb0EPKPK19rocblas_complex_numIfEPKPS1_S6_EviT3_lllT4_lllT5_li,"axG",@progbits,_ZL20rocblas_trmvn_kernelILi64ELi16ELb1ELb0EPKPK19rocblas_complex_numIfEPKPS1_S6_EviT3_lllT4_lllT5_li,comdat
	.globl	_ZL20rocblas_trmvn_kernelILi64ELi16ELb1ELb0EPKPK19rocblas_complex_numIfEPKPS1_S6_EviT3_lllT4_lllT5_li ; -- Begin function _ZL20rocblas_trmvn_kernelILi64ELi16ELb1ELb0EPKPK19rocblas_complex_numIfEPKPS1_S6_EviT3_lllT4_lllT5_li
	.p2align	8
	.type	_ZL20rocblas_trmvn_kernelILi64ELi16ELb1ELb0EPKPK19rocblas_complex_numIfEPKPS1_S6_EviT3_lllT4_lllT5_li,@function
_ZL20rocblas_trmvn_kernelILi64ELi16ELb1ELb0EPKPK19rocblas_complex_numIfEPKPS1_S6_EviT3_lllT4_lllT5_li: ; @_ZL20rocblas_trmvn_kernelILi64ELi16ELb1ELb0EPKPK19rocblas_complex_numIfEPKPS1_S6_EviT3_lllT4_lllT5_li
; %bb.0:
	s_clause 0x2
	s_load_dwordx4 s[0:3], s[4:5], 0x8
	s_load_dwordx4 s[8:11], s[4:5], 0x28
	s_load_dword s20, s[4:5], 0x0
	s_mov_b32 s12, s7
	s_mov_b32 s13, 0
	s_clause 0x1
	s_load_dwordx2 s[14:15], s[4:5], 0x18
	s_load_dwordx2 s[16:17], s[4:5], 0x38
	s_lshl_b64 s[18:19], s[12:13], 3
	v_lshl_add_u32 v2, s6, 6, v0
	v_mov_b32_e32 v4, 0
	v_mov_b32_e32 v5, v4
	s_waitcnt lgkmcnt(0)
	s_add_u32 s0, s0, s18
	s_addc_u32 s1, s1, s19
	s_add_u32 s18, s8, s18
	s_addc_u32 s19, s9, s19
	s_load_dwordx2 s[8:9], s[0:1], 0x0
	s_load_dwordx2 s[18:19], s[18:19], 0x0
	v_cmp_eq_u32_e64 s0, 0, v1
	v_cmp_gt_i32_e32 vcc_lo, s20, v2
	s_and_b32 s0, s0, vcc_lo
	s_and_saveexec_b32 s1, s0
	s_cbranch_execz .LBB81_2
; %bb.1:
	v_ashrrev_i32_e32 v3, 31, v2
	v_mul_lo_u32 v8, v2, s15
	v_mul_lo_u32 v10, s17, v2
	v_mad_u64_u32 v[6:7], null, s16, v2, 0
	v_mul_lo_u32 v9, v3, s14
	v_mad_u64_u32 v[4:5], null, v2, s14, v[2:3]
	v_mul_lo_u32 v3, s16, v3
	s_lshl_b64 s[6:7], s[2:3], 3
	s_waitcnt lgkmcnt(0)
	s_add_u32 s0, s8, s6
	s_addc_u32 s13, s9, s7
	s_lshl_b64 s[6:7], s[10:11], 3
	v_add3_u32 v5, v9, v5, v8
	s_add_u32 s6, s18, s6
	v_add3_u32 v7, v7, v3, v10
	s_addc_u32 s7, s19, s7
	v_lshlrev_b64 v[3:4], 3, v[4:5]
	v_lshlrev_b64 v[5:6], 3, v[6:7]
	v_add_co_u32 v3, s0, s0, v3
	v_add_co_ci_u32_e64 v4, null, s13, v4, s0
	v_add_co_u32 v5, s0, s6, v5
	v_add_co_ci_u32_e64 v6, null, s7, v6, s0
	flat_load_dwordx2 v[3:4], v[3:4]
	flat_load_dwordx2 v[6:7], v[5:6]
	s_waitcnt vmcnt(0) lgkmcnt(0)
	v_mul_f32_e32 v8, v7, v4
	v_mul_f32_e32 v5, v6, v4
	v_fma_f32 v4, v6, v3, -v8
	v_fmac_f32_e32 v5, v7, v3
.LBB81_2:
	s_or_b32 exec_lo, exec_lo, s1
	s_load_dword s13, s[4:5], 0x6c
	s_mov_b32 s21, exec_lo
	v_cmpx_gt_i32_e64 s20, v1
	s_cbranch_execz .LBB81_8
; %bb.3:
	v_mad_u64_u32 v[6:7], null, s14, v1, 0
	v_mad_u64_u32 v[8:9], null, s16, v1, 0
	s_lshl_b64 s[0:1], s[10:11], 3
	s_waitcnt lgkmcnt(0)
	s_add_u32 s6, s18, s0
	s_addc_u32 s7, s19, s1
	v_mov_b32_e32 v3, v7
	s_lshl_b64 s[0:1], s[2:3], 3
	s_lshl_b64 s[2:3], s[16:17], 7
	v_mad_u64_u32 v[10:11], null, s15, v1, v[3:4]
	v_mov_b32_e32 v3, v9
	v_mov_b32_e32 v7, v10
	v_mad_u64_u32 v[9:10], null, s17, v1, v[3:4]
	v_ashrrev_i32_e32 v3, 31, v2
	v_lshlrev_b64 v[6:7], 3, v[6:7]
	v_lshlrev_b64 v[10:11], 3, v[2:3]
	v_add_co_u32 v3, s0, v6, s0
	v_add_co_ci_u32_e64 v12, null, s1, v7, s0
	v_lshlrev_b64 v[6:7], 3, v[8:9]
	v_add_co_u32 v3, s0, v3, v10
	v_add_co_ci_u32_e64 v9, null, v12, v11, s0
	v_add_co_u32 v6, s0, s6, v6
	v_add_co_ci_u32_e64 v7, null, s7, v7, s0
	;; [unrolled: 2-line block ×3, first 2 shown]
	v_mov_b32_e32 v3, v1
	s_lshl_b64 s[6:7], s[14:15], 7
	s_mov_b32 s8, 0
	s_inst_prefetch 0x1
	s_branch .LBB81_5
	.p2align	6
.LBB81_4:                               ;   in Loop: Header=BB81_5 Depth=1
	s_or_b32 exec_lo, exec_lo, s0
	v_add_nc_u32_e32 v3, 16, v3
	v_add_co_u32 v6, s0, v6, s2
	v_add_co_ci_u32_e64 v7, null, s3, v7, s0
	v_cmp_le_i32_e64 s0, s20, v3
	v_add_co_u32 v8, s1, v8, s6
	v_add_co_ci_u32_e64 v9, null, s7, v9, s1
	s_or_b32 s8, s0, s8
	s_andn2_b32 exec_lo, exec_lo, s8
	s_cbranch_execz .LBB81_7
.LBB81_5:                               ; =>This Inner Loop Header: Depth=1
	v_cmp_lt_i32_e64 s0, v3, v2
	s_and_b32 s1, vcc_lo, s0
	s_and_saveexec_b32 s0, s1
	s_cbranch_execz .LBB81_4
; %bb.6:                                ;   in Loop: Header=BB81_5 Depth=1
	flat_load_dwordx2 v[10:11], v[8:9]
	flat_load_dwordx2 v[12:13], v[6:7]
	s_waitcnt vmcnt(0) lgkmcnt(0)
	v_mul_f32_e32 v14, v13, v11
	v_mul_f32_e32 v11, v12, v11
	v_fma_f32 v12, v12, v10, -v14
	v_fmac_f32_e32 v11, v13, v10
	v_add_f32_e32 v4, v4, v12
	v_add_f32_e32 v5, v5, v11
	s_branch .LBB81_4
.LBB81_7:
	s_inst_prefetch 0x2
	s_or_b32 exec_lo, exec_lo, s8
.LBB81_8:
	s_or_b32 exec_lo, exec_lo, s21
	v_lshlrev_b32_e32 v3, 3, v0
	s_waitcnt lgkmcnt(0)
	s_and_b32 s1, 0xffff, s13
	s_mov_b32 s2, exec_lo
	v_mad_u32_u24 v0, v1, s1, v0
	v_lshl_add_u32 v6, v1, 9, v3
	ds_write_b64 v6, v[4:5]
	s_waitcnt lgkmcnt(0)
	s_barrier
	buffer_gl0_inv
	v_cmpx_gt_u32_e32 64, v0
	s_cbranch_execz .LBB81_11
; %bb.9:
	v_mul_u32_u24_e32 v0, s1, v1
	v_lshl_add_u32 v0, v0, 3, v3
	ds_read2st64_b64 v[3:6], v0 offset1:1
	ds_read2st64_b64 v[7:10], v0 offset0:2 offset1:3
	ds_read2st64_b64 v[11:14], v0 offset0:4 offset1:5
	s_waitcnt lgkmcnt(2)
	v_add_f32_e32 v1, v3, v5
	v_add_f32_e32 v15, v4, v6
	ds_read2st64_b64 v[3:6], v0 offset0:6 offset1:7
	s_waitcnt lgkmcnt(2)
	v_add_f32_e32 v1, v1, v7
	v_add_f32_e32 v7, v15, v8
	v_add_f32_e32 v1, v1, v9
	v_add_f32_e32 v15, v7, v10
	ds_read2st64_b64 v[7:10], v0 offset0:8 offset1:9
	s_waitcnt lgkmcnt(2)
	v_add_f32_e32 v1, v1, v11
	v_add_f32_e32 v11, v15, v12
	;; [unrolled: 6-line block ×5, first 2 shown]
	v_add_f32_e32 v1, v1, v13
	v_add_f32_e32 v11, v11, v14
	s_waitcnt lgkmcnt(1)
	v_add_f32_e32 v1, v1, v3
	v_add_f32_e32 v3, v11, v4
	;; [unrolled: 1-line block ×4, first 2 shown]
	s_waitcnt lgkmcnt(0)
	v_add_f32_e32 v1, v1, v7
	v_add_f32_e32 v4, v3, v8
	;; [unrolled: 1-line block ×4, first 2 shown]
	ds_write_b64 v0, v[3:4]
	s_and_b32 exec_lo, exec_lo, vcc_lo
	s_cbranch_execz .LBB81_11
; %bb.10:
	s_load_dwordx4 s[0:3], s[4:5], 0x48
	ds_read_b64 v[0:1], v0
	v_ashrrev_i32_e32 v3, 31, v2
	v_lshlrev_b64 v[2:3], 3, v[2:3]
	s_waitcnt lgkmcnt(0)
	s_mul_i32 s3, s3, s12
	s_mul_hi_u32 s4, s2, s12
	s_mul_i32 s2, s2, s12
	s_add_i32 s3, s4, s3
	s_lshl_b64 s[2:3], s[2:3], 3
	s_add_u32 s0, s0, s2
	s_addc_u32 s1, s1, s3
	v_add_co_u32 v2, vcc_lo, s0, v2
	v_add_co_ci_u32_e64 v3, null, s1, v3, vcc_lo
	global_store_dwordx2 v[2:3], v[0:1], off
.LBB81_11:
	s_endpgm
	.section	.rodata,"a",@progbits
	.p2align	6, 0x0
	.amdhsa_kernel _ZL20rocblas_trmvn_kernelILi64ELi16ELb1ELb0EPKPK19rocblas_complex_numIfEPKPS1_S6_EviT3_lllT4_lllT5_li
		.amdhsa_group_segment_fixed_size 8192
		.amdhsa_private_segment_fixed_size 0
		.amdhsa_kernarg_size 352
		.amdhsa_user_sgpr_count 6
		.amdhsa_user_sgpr_private_segment_buffer 1
		.amdhsa_user_sgpr_dispatch_ptr 0
		.amdhsa_user_sgpr_queue_ptr 0
		.amdhsa_user_sgpr_kernarg_segment_ptr 1
		.amdhsa_user_sgpr_dispatch_id 0
		.amdhsa_user_sgpr_flat_scratch_init 0
		.amdhsa_user_sgpr_private_segment_size 0
		.amdhsa_wavefront_size32 1
		.amdhsa_uses_dynamic_stack 0
		.amdhsa_system_sgpr_private_segment_wavefront_offset 0
		.amdhsa_system_sgpr_workgroup_id_x 1
		.amdhsa_system_sgpr_workgroup_id_y 0
		.amdhsa_system_sgpr_workgroup_id_z 1
		.amdhsa_system_sgpr_workgroup_info 0
		.amdhsa_system_vgpr_workitem_id 1
		.amdhsa_next_free_vgpr 16
		.amdhsa_next_free_sgpr 22
		.amdhsa_reserve_vcc 1
		.amdhsa_reserve_flat_scratch 0
		.amdhsa_float_round_mode_32 0
		.amdhsa_float_round_mode_16_64 0
		.amdhsa_float_denorm_mode_32 3
		.amdhsa_float_denorm_mode_16_64 3
		.amdhsa_dx10_clamp 1
		.amdhsa_ieee_mode 1
		.amdhsa_fp16_overflow 0
		.amdhsa_workgroup_processor_mode 1
		.amdhsa_memory_ordered 1
		.amdhsa_forward_progress 1
		.amdhsa_shared_vgpr_count 0
		.amdhsa_exception_fp_ieee_invalid_op 0
		.amdhsa_exception_fp_denorm_src 0
		.amdhsa_exception_fp_ieee_div_zero 0
		.amdhsa_exception_fp_ieee_overflow 0
		.amdhsa_exception_fp_ieee_underflow 0
		.amdhsa_exception_fp_ieee_inexact 0
		.amdhsa_exception_int_div_zero 0
	.end_amdhsa_kernel
	.section	.text._ZL20rocblas_trmvn_kernelILi64ELi16ELb1ELb0EPKPK19rocblas_complex_numIfEPKPS1_S6_EviT3_lllT4_lllT5_li,"axG",@progbits,_ZL20rocblas_trmvn_kernelILi64ELi16ELb1ELb0EPKPK19rocblas_complex_numIfEPKPS1_S6_EviT3_lllT4_lllT5_li,comdat
.Lfunc_end81:
	.size	_ZL20rocblas_trmvn_kernelILi64ELi16ELb1ELb0EPKPK19rocblas_complex_numIfEPKPS1_S6_EviT3_lllT4_lllT5_li, .Lfunc_end81-_ZL20rocblas_trmvn_kernelILi64ELi16ELb1ELb0EPKPK19rocblas_complex_numIfEPKPS1_S6_EviT3_lllT4_lllT5_li
                                        ; -- End function
	.set _ZL20rocblas_trmvn_kernelILi64ELi16ELb1ELb0EPKPK19rocblas_complex_numIfEPKPS1_S6_EviT3_lllT4_lllT5_li.num_vgpr, 16
	.set _ZL20rocblas_trmvn_kernelILi64ELi16ELb1ELb0EPKPK19rocblas_complex_numIfEPKPS1_S6_EviT3_lllT4_lllT5_li.num_agpr, 0
	.set _ZL20rocblas_trmvn_kernelILi64ELi16ELb1ELb0EPKPK19rocblas_complex_numIfEPKPS1_S6_EviT3_lllT4_lllT5_li.numbered_sgpr, 22
	.set _ZL20rocblas_trmvn_kernelILi64ELi16ELb1ELb0EPKPK19rocblas_complex_numIfEPKPS1_S6_EviT3_lllT4_lllT5_li.num_named_barrier, 0
	.set _ZL20rocblas_trmvn_kernelILi64ELi16ELb1ELb0EPKPK19rocblas_complex_numIfEPKPS1_S6_EviT3_lllT4_lllT5_li.private_seg_size, 0
	.set _ZL20rocblas_trmvn_kernelILi64ELi16ELb1ELb0EPKPK19rocblas_complex_numIfEPKPS1_S6_EviT3_lllT4_lllT5_li.uses_vcc, 1
	.set _ZL20rocblas_trmvn_kernelILi64ELi16ELb1ELb0EPKPK19rocblas_complex_numIfEPKPS1_S6_EviT3_lllT4_lllT5_li.uses_flat_scratch, 0
	.set _ZL20rocblas_trmvn_kernelILi64ELi16ELb1ELb0EPKPK19rocblas_complex_numIfEPKPS1_S6_EviT3_lllT4_lllT5_li.has_dyn_sized_stack, 0
	.set _ZL20rocblas_trmvn_kernelILi64ELi16ELb1ELb0EPKPK19rocblas_complex_numIfEPKPS1_S6_EviT3_lllT4_lllT5_li.has_recursion, 0
	.set _ZL20rocblas_trmvn_kernelILi64ELi16ELb1ELb0EPKPK19rocblas_complex_numIfEPKPS1_S6_EviT3_lllT4_lllT5_li.has_indirect_call, 0
	.section	.AMDGPU.csdata,"",@progbits
; Kernel info:
; codeLenInByte = 1120
; TotalNumSgprs: 24
; NumVgprs: 16
; ScratchSize: 0
; MemoryBound: 0
; FloatMode: 240
; IeeeMode: 1
; LDSByteSize: 8192 bytes/workgroup (compile time only)
; SGPRBlocks: 0
; VGPRBlocks: 1
; NumSGPRsForWavesPerEU: 24
; NumVGPRsForWavesPerEU: 16
; Occupancy: 16
; WaveLimiterHint : 1
; COMPUTE_PGM_RSRC2:SCRATCH_EN: 0
; COMPUTE_PGM_RSRC2:USER_SGPR: 6
; COMPUTE_PGM_RSRC2:TRAP_HANDLER: 0
; COMPUTE_PGM_RSRC2:TGID_X_EN: 1
; COMPUTE_PGM_RSRC2:TGID_Y_EN: 0
; COMPUTE_PGM_RSRC2:TGID_Z_EN: 1
; COMPUTE_PGM_RSRC2:TIDIG_COMP_CNT: 1
	.section	.text._ZL20rocblas_trmvt_kernelILi512ELb1ELb0ELb0EPKPK19rocblas_complex_numIfEPKPS1_S6_EviT3_lllT4_lllT5_li,"axG",@progbits,_ZL20rocblas_trmvt_kernelILi512ELb1ELb0ELb0EPKPK19rocblas_complex_numIfEPKPS1_S6_EviT3_lllT4_lllT5_li,comdat
	.globl	_ZL20rocblas_trmvt_kernelILi512ELb1ELb0ELb0EPKPK19rocblas_complex_numIfEPKPS1_S6_EviT3_lllT4_lllT5_li ; -- Begin function _ZL20rocblas_trmvt_kernelILi512ELb1ELb0ELb0EPKPK19rocblas_complex_numIfEPKPS1_S6_EviT3_lllT4_lllT5_li
	.p2align	8
	.type	_ZL20rocblas_trmvt_kernelILi512ELb1ELb0ELb0EPKPK19rocblas_complex_numIfEPKPS1_S6_EviT3_lllT4_lllT5_li,@function
_ZL20rocblas_trmvt_kernelILi512ELb1ELb0ELb0EPKPK19rocblas_complex_numIfEPKPS1_S6_EviT3_lllT4_lllT5_li: ; @_ZL20rocblas_trmvt_kernelILi512ELb1ELb0ELb0EPKPK19rocblas_complex_numIfEPKPS1_S6_EviT3_lllT4_lllT5_li
; %bb.0:
	s_clause 0x1
	s_load_dwordx4 s[16:19], s[4:5], 0x8
	s_load_dword s14, s[4:5], 0x0
	s_mov_b32 s2, s7
	s_mov_b32 s3, 0
	s_load_dwordx2 s[22:23], s[4:5], 0x18
	s_lshl_b64 s[20:21], s[2:3], 3
	v_mov_b32_e32 v5, 0
	v_mov_b32_e32 v6, 0
	s_waitcnt lgkmcnt(0)
	s_add_u32 s0, s16, s20
	s_addc_u32 s1, s17, s21
	s_lshl_b64 s[18:19], s[18:19], 3
	s_load_dwordx2 s[16:17], s[0:1], 0x0
	s_clause 0x1
	s_load_dwordx4 s[8:11], s[4:5], 0x28
	s_load_dwordx2 s[12:13], s[4:5], 0x38
	v_cmp_gt_i32_e64 s0, s14, v0
	s_mul_hi_u32 s1, s22, s6
	s_mul_i32 s3, s23, s6
	v_cndmask_b32_e64 v1, 0, v0, s0
	v_lshlrev_b32_e32 v1, 3, v1
	s_waitcnt lgkmcnt(0)
	s_add_u32 s15, s16, s18
	s_addc_u32 s18, s17, s19
	s_add_u32 s8, s8, s20
	s_addc_u32 s9, s9, s21
	s_ashr_i32 s7, s6, 31
	s_load_dwordx2 s[8:9], s[8:9], 0x0
	s_mul_i32 s16, s22, s7
	s_add_i32 s1, s1, s16
	s_mul_i32 s16, s22, s6
	s_add_i32 s17, s1, s3
	v_add_co_u32 v1, s1, s15, v1
	v_add_co_ci_u32_e64 v2, null, s18, 0, s1
	s_lshl_b64 s[16:17], s[16:17], 3
	v_add_co_u32 v1, vcc_lo, v1, s16
	v_add_co_ci_u32_e64 v2, null, s17, v2, vcc_lo
	v_cmp_eq_u32_e32 vcc_lo, 0, v0
	s_and_saveexec_b32 s3, vcc_lo
	s_cbranch_execz .LBB82_2
; %bb.1:
	s_lshl_b64 s[16:17], s[10:11], 3
	s_mul_i32 s1, s12, s7
	s_waitcnt lgkmcnt(0)
	s_add_u32 s15, s8, s16
	s_mul_hi_u32 s16, s12, s6
	s_addc_u32 s20, s9, s17
	s_add_i32 s1, s16, s1
	s_mul_i32 s16, s13, s6
	s_lshl_b64 s[18:19], s[6:7], 3
	s_add_i32 s17, s1, s16
	s_mul_i32 s16, s12, s6
	v_add_co_u32 v3, s1, v1, s18
	s_lshl_b64 s[16:17], s[16:17], 3
	v_add_co_ci_u32_e64 v4, null, s19, v2, s1
	s_add_u32 s16, s15, s16
	s_addc_u32 s17, s20, s17
	v_mov_b32_e32 v5, s16
	v_mov_b32_e32 v6, s17
	flat_load_dwordx2 v[3:4], v[3:4]
	flat_load_dwordx2 v[5:6], v[5:6]
	s_waitcnt vmcnt(0) lgkmcnt(0)
	v_mul_f32_e32 v7, v6, v4
	v_mul_f32_e32 v4, v5, v4
	v_fma_f32 v5, v5, v3, -v7
	v_fmac_f32_e32 v4, v6, v3
	v_add_f32_e32 v5, 0, v5
	v_add_f32_e32 v6, 0, v4
.LBB82_2:
	s_or_b32 exec_lo, exec_lo, s3
	s_and_saveexec_b32 s3, s0
	s_cbranch_execz .LBB82_8
; %bb.3:
	v_mad_u64_u32 v[3:4], null, s12, v0, 0
	s_lshl_b64 s[0:1], s[10:11], 3
	s_mov_b32 s10, 0
	s_waitcnt lgkmcnt(0)
	s_add_u32 s0, s8, s0
	s_addc_u32 s1, s9, s1
	s_lshl_b64 s[8:9], s[12:13], 12
	v_mad_u64_u32 v[7:8], null, s13, v0, v[4:5]
	v_mov_b32_e32 v4, v7
	v_mov_b32_e32 v7, v0
	v_lshlrev_b64 v[3:4], 3, v[3:4]
	v_add_co_u32 v3, s0, s0, v3
	v_add_co_ci_u32_e64 v4, null, s1, v4, s0
	s_inst_prefetch 0x1
	s_branch .LBB82_5
	.p2align	6
.LBB82_4:                               ;   in Loop: Header=BB82_5 Depth=1
	s_or_b32 exec_lo, exec_lo, s1
	v_add_nc_u32_e32 v7, 0x200, v7
	v_add_co_u32 v1, s0, 0x1000, v1
	v_add_co_ci_u32_e64 v2, null, 0, v2, s0
	v_cmp_le_i32_e64 s0, s14, v7
	v_add_co_u32 v3, s1, v3, s8
	v_add_co_ci_u32_e64 v4, null, s9, v4, s1
	s_or_b32 s10, s0, s10
	s_andn2_b32 exec_lo, exec_lo, s10
	s_cbranch_execz .LBB82_7
.LBB82_5:                               ; =>This Inner Loop Header: Depth=1
	s_mov_b32 s1, exec_lo
	v_cmpx_lt_i32_e64 s6, v7
	s_cbranch_execz .LBB82_4
; %bb.6:                                ;   in Loop: Header=BB82_5 Depth=1
	flat_load_dwordx2 v[8:9], v[1:2]
	flat_load_dwordx2 v[10:11], v[3:4]
	s_waitcnt vmcnt(0) lgkmcnt(0)
	v_mul_f32_e32 v12, v11, v9
	v_mul_f32_e32 v9, v10, v9
	v_fma_f32 v10, v10, v8, -v12
	v_fmac_f32_e32 v9, v11, v8
	v_add_f32_e32 v5, v5, v10
	v_add_f32_e32 v6, v6, v9
	s_branch .LBB82_4
.LBB82_7:
	s_inst_prefetch 0x2
	s_or_b32 exec_lo, exec_lo, s10
.LBB82_8:
	s_or_b32 exec_lo, exec_lo, s3
	v_and_b32_e32 v1, 31, v0
	v_cmp_gt_u32_e64 s0, 32, v0
	v_lshlrev_b32_e32 v2, 3, v1
	s_and_saveexec_b32 s1, s0
; %bb.9:
	v_mov_b32_e32 v3, 0
	v_mov_b32_e32 v4, v3
	ds_write_b64 v2, v[3:4]
; %bb.10:
	s_or_b32 exec_lo, exec_lo, s1
	v_mbcnt_lo_u32_b32 v7, -1, 0
	s_mov_b32 s3, exec_lo
	s_waitcnt lgkmcnt(0)
	s_barrier
	buffer_gl0_inv
	v_lshl_or_b32 v3, v7, 2, 64
	v_cmp_gt_u32_e64 s1, 24, v7
	ds_bpermute_b32 v4, v3, v5
	ds_bpermute_b32 v8, v3, v6
	v_cndmask_b32_e64 v3, 0, 8, s1
	v_cmp_gt_u32_e64 s1, 28, v7
	v_add_lshl_u32 v3, v3, v7, 2
	s_waitcnt lgkmcnt(1)
	v_add_f32_e32 v5, v5, v4
	s_waitcnt lgkmcnt(0)
	v_add_f32_e32 v6, v6, v8
	v_cndmask_b32_e64 v4, 0, 4, s1
	v_cmp_gt_u32_e64 s1, 30, v7
	ds_bpermute_b32 v8, v3, v5
	ds_bpermute_b32 v9, v3, v6
	v_add_lshl_u32 v4, v4, v7, 2
	s_waitcnt lgkmcnt(1)
	v_add_f32_e32 v8, v5, v8
	s_waitcnt lgkmcnt(0)
	v_add_f32_e32 v6, v6, v9
	v_cndmask_b32_e64 v5, 0, 2, s1
	v_cmp_ne_u32_e64 s1, 31, v7
	ds_bpermute_b32 v9, v4, v8
	ds_bpermute_b32 v10, v4, v6
	v_add_lshl_u32 v5, v5, v7, 2
	s_waitcnt lgkmcnt(1)
	v_add_f32_e32 v8, v8, v9
	s_waitcnt lgkmcnt(0)
	v_add_f32_e32 v9, v6, v10
	v_add_co_ci_u32_e64 v6, null, 0, v7, s1
	ds_bpermute_b32 v10, v5, v8
	ds_bpermute_b32 v11, v5, v9
	v_lshlrev_b32_e32 v6, 2, v6
	s_waitcnt lgkmcnt(1)
	v_add_f32_e32 v7, v8, v10
	s_waitcnt lgkmcnt(0)
	v_add_f32_e32 v9, v9, v11
	ds_bpermute_b32 v8, v6, v7
	ds_bpermute_b32 v10, v6, v9
	v_cmpx_eq_u32_e32 0, v1
	s_cbranch_execz .LBB82_12
; %bb.11:
	v_lshrrev_b32_e32 v1, 2, v0
	s_waitcnt lgkmcnt(0)
	v_add_f32_e32 v9, v9, v10
	v_add_f32_e32 v8, v7, v8
	v_and_b32_e32 v1, 0x78, v1
	ds_write_b64 v1, v[8:9]
.LBB82_12:
	s_or_b32 exec_lo, exec_lo, s3
	v_cmp_gt_u32_e64 s1, 16, v0
	v_mov_b32_e32 v1, 0
	v_mov_b32_e32 v0, 0
	s_waitcnt lgkmcnt(0)
	s_barrier
	buffer_gl0_inv
	s_and_saveexec_b32 s3, s1
	s_cbranch_execnz .LBB82_16
; %bb.13:
	s_or_b32 exec_lo, exec_lo, s3
	s_and_saveexec_b32 s1, s0
	s_cbranch_execnz .LBB82_17
.LBB82_14:
	s_or_b32 exec_lo, exec_lo, s1
	s_and_saveexec_b32 s0, vcc_lo
	s_cbranch_execnz .LBB82_18
.LBB82_15:
	s_endpgm
.LBB82_16:
	ds_read_b64 v[0:1], v2
	s_or_b32 exec_lo, exec_lo, s3
	s_and_saveexec_b32 s1, s0
	s_cbranch_execz .LBB82_14
.LBB82_17:
	s_waitcnt lgkmcnt(0)
	ds_bpermute_b32 v2, v3, v0
	ds_bpermute_b32 v3, v3, v1
	s_waitcnt lgkmcnt(1)
	v_add_f32_e32 v0, v0, v2
	s_waitcnt lgkmcnt(0)
	v_add_f32_e32 v1, v1, v3
	ds_bpermute_b32 v2, v4, v0
	ds_bpermute_b32 v3, v4, v1
	s_waitcnt lgkmcnt(1)
	v_add_f32_e32 v0, v0, v2
	s_waitcnt lgkmcnt(0)
	v_add_f32_e32 v1, v1, v3
	;; [unrolled: 6-line block ×4, first 2 shown]
	s_or_b32 exec_lo, exec_lo, s1
	s_and_saveexec_b32 s0, vcc_lo
	s_cbranch_execz .LBB82_15
.LBB82_18:
	s_load_dwordx4 s[8:11], s[4:5], 0x48
	v_mov_b32_e32 v2, 0
	s_waitcnt lgkmcnt(0)
	s_mul_i32 s1, s11, s2
	s_mul_hi_u32 s3, s10, s2
	s_mul_i32 s0, s10, s2
	s_add_i32 s1, s3, s1
	s_lshl_b64 s[0:1], s[0:1], 3
	s_add_u32 s2, s8, s0
	s_addc_u32 s3, s9, s1
	s_lshl_b64 s[0:1], s[6:7], 3
	s_add_u32 s0, s2, s0
	s_addc_u32 s1, s3, s1
	global_store_dwordx2 v2, v[0:1], s[0:1]
	s_endpgm
	.section	.rodata,"a",@progbits
	.p2align	6, 0x0
	.amdhsa_kernel _ZL20rocblas_trmvt_kernelILi512ELb1ELb0ELb0EPKPK19rocblas_complex_numIfEPKPS1_S6_EviT3_lllT4_lllT5_li
		.amdhsa_group_segment_fixed_size 256
		.amdhsa_private_segment_fixed_size 0
		.amdhsa_kernarg_size 92
		.amdhsa_user_sgpr_count 6
		.amdhsa_user_sgpr_private_segment_buffer 1
		.amdhsa_user_sgpr_dispatch_ptr 0
		.amdhsa_user_sgpr_queue_ptr 0
		.amdhsa_user_sgpr_kernarg_segment_ptr 1
		.amdhsa_user_sgpr_dispatch_id 0
		.amdhsa_user_sgpr_flat_scratch_init 0
		.amdhsa_user_sgpr_private_segment_size 0
		.amdhsa_wavefront_size32 1
		.amdhsa_uses_dynamic_stack 0
		.amdhsa_system_sgpr_private_segment_wavefront_offset 0
		.amdhsa_system_sgpr_workgroup_id_x 1
		.amdhsa_system_sgpr_workgroup_id_y 0
		.amdhsa_system_sgpr_workgroup_id_z 1
		.amdhsa_system_sgpr_workgroup_info 0
		.amdhsa_system_vgpr_workitem_id 0
		.amdhsa_next_free_vgpr 13
		.amdhsa_next_free_sgpr 24
		.amdhsa_reserve_vcc 1
		.amdhsa_reserve_flat_scratch 0
		.amdhsa_float_round_mode_32 0
		.amdhsa_float_round_mode_16_64 0
		.amdhsa_float_denorm_mode_32 3
		.amdhsa_float_denorm_mode_16_64 3
		.amdhsa_dx10_clamp 1
		.amdhsa_ieee_mode 1
		.amdhsa_fp16_overflow 0
		.amdhsa_workgroup_processor_mode 1
		.amdhsa_memory_ordered 1
		.amdhsa_forward_progress 1
		.amdhsa_shared_vgpr_count 0
		.amdhsa_exception_fp_ieee_invalid_op 0
		.amdhsa_exception_fp_denorm_src 0
		.amdhsa_exception_fp_ieee_div_zero 0
		.amdhsa_exception_fp_ieee_overflow 0
		.amdhsa_exception_fp_ieee_underflow 0
		.amdhsa_exception_fp_ieee_inexact 0
		.amdhsa_exception_int_div_zero 0
	.end_amdhsa_kernel
	.section	.text._ZL20rocblas_trmvt_kernelILi512ELb1ELb0ELb0EPKPK19rocblas_complex_numIfEPKPS1_S6_EviT3_lllT4_lllT5_li,"axG",@progbits,_ZL20rocblas_trmvt_kernelILi512ELb1ELb0ELb0EPKPK19rocblas_complex_numIfEPKPS1_S6_EviT3_lllT4_lllT5_li,comdat
.Lfunc_end82:
	.size	_ZL20rocblas_trmvt_kernelILi512ELb1ELb0ELb0EPKPK19rocblas_complex_numIfEPKPS1_S6_EviT3_lllT4_lllT5_li, .Lfunc_end82-_ZL20rocblas_trmvt_kernelILi512ELb1ELb0ELb0EPKPK19rocblas_complex_numIfEPKPS1_S6_EviT3_lllT4_lllT5_li
                                        ; -- End function
	.set _ZL20rocblas_trmvt_kernelILi512ELb1ELb0ELb0EPKPK19rocblas_complex_numIfEPKPS1_S6_EviT3_lllT4_lllT5_li.num_vgpr, 13
	.set _ZL20rocblas_trmvt_kernelILi512ELb1ELb0ELb0EPKPK19rocblas_complex_numIfEPKPS1_S6_EviT3_lllT4_lllT5_li.num_agpr, 0
	.set _ZL20rocblas_trmvt_kernelILi512ELb1ELb0ELb0EPKPK19rocblas_complex_numIfEPKPS1_S6_EviT3_lllT4_lllT5_li.numbered_sgpr, 24
	.set _ZL20rocblas_trmvt_kernelILi512ELb1ELb0ELb0EPKPK19rocblas_complex_numIfEPKPS1_S6_EviT3_lllT4_lllT5_li.num_named_barrier, 0
	.set _ZL20rocblas_trmvt_kernelILi512ELb1ELb0ELb0EPKPK19rocblas_complex_numIfEPKPS1_S6_EviT3_lllT4_lllT5_li.private_seg_size, 0
	.set _ZL20rocblas_trmvt_kernelILi512ELb1ELb0ELb0EPKPK19rocblas_complex_numIfEPKPS1_S6_EviT3_lllT4_lllT5_li.uses_vcc, 1
	.set _ZL20rocblas_trmvt_kernelILi512ELb1ELb0ELb0EPKPK19rocblas_complex_numIfEPKPS1_S6_EviT3_lllT4_lllT5_li.uses_flat_scratch, 0
	.set _ZL20rocblas_trmvt_kernelILi512ELb1ELb0ELb0EPKPK19rocblas_complex_numIfEPKPS1_S6_EviT3_lllT4_lllT5_li.has_dyn_sized_stack, 0
	.set _ZL20rocblas_trmvt_kernelILi512ELb1ELb0ELb0EPKPK19rocblas_complex_numIfEPKPS1_S6_EviT3_lllT4_lllT5_li.has_recursion, 0
	.set _ZL20rocblas_trmvt_kernelILi512ELb1ELb0ELb0EPKPK19rocblas_complex_numIfEPKPS1_S6_EviT3_lllT4_lllT5_li.has_indirect_call, 0
	.section	.AMDGPU.csdata,"",@progbits
; Kernel info:
; codeLenInByte = 1252
; TotalNumSgprs: 26
; NumVgprs: 13
; ScratchSize: 0
; MemoryBound: 0
; FloatMode: 240
; IeeeMode: 1
; LDSByteSize: 256 bytes/workgroup (compile time only)
; SGPRBlocks: 0
; VGPRBlocks: 1
; NumSGPRsForWavesPerEU: 26
; NumVGPRsForWavesPerEU: 13
; Occupancy: 16
; WaveLimiterHint : 1
; COMPUTE_PGM_RSRC2:SCRATCH_EN: 0
; COMPUTE_PGM_RSRC2:USER_SGPR: 6
; COMPUTE_PGM_RSRC2:TRAP_HANDLER: 0
; COMPUTE_PGM_RSRC2:TGID_X_EN: 1
; COMPUTE_PGM_RSRC2:TGID_Y_EN: 0
; COMPUTE_PGM_RSRC2:TGID_Z_EN: 1
; COMPUTE_PGM_RSRC2:TIDIG_COMP_CNT: 0
	.section	.text._ZL20rocblas_trmvt_kernelILi512ELb1ELb1ELb0EPKPK19rocblas_complex_numIfEPKPS1_S6_EviT3_lllT4_lllT5_li,"axG",@progbits,_ZL20rocblas_trmvt_kernelILi512ELb1ELb1ELb0EPKPK19rocblas_complex_numIfEPKPS1_S6_EviT3_lllT4_lllT5_li,comdat
	.globl	_ZL20rocblas_trmvt_kernelILi512ELb1ELb1ELb0EPKPK19rocblas_complex_numIfEPKPS1_S6_EviT3_lllT4_lllT5_li ; -- Begin function _ZL20rocblas_trmvt_kernelILi512ELb1ELb1ELb0EPKPK19rocblas_complex_numIfEPKPS1_S6_EviT3_lllT4_lllT5_li
	.p2align	8
	.type	_ZL20rocblas_trmvt_kernelILi512ELb1ELb1ELb0EPKPK19rocblas_complex_numIfEPKPS1_S6_EviT3_lllT4_lllT5_li,@function
_ZL20rocblas_trmvt_kernelILi512ELb1ELb1ELb0EPKPK19rocblas_complex_numIfEPKPS1_S6_EviT3_lllT4_lllT5_li: ; @_ZL20rocblas_trmvt_kernelILi512ELb1ELb1ELb0EPKPK19rocblas_complex_numIfEPKPS1_S6_EviT3_lllT4_lllT5_li
; %bb.0:
	s_clause 0x1
	s_load_dwordx4 s[16:19], s[4:5], 0x8
	s_load_dword s14, s[4:5], 0x0
	s_mov_b32 s2, s7
	s_mov_b32 s3, 0
	s_load_dwordx2 s[22:23], s[4:5], 0x18
	s_lshl_b64 s[20:21], s[2:3], 3
	v_mov_b32_e32 v5, 0
	v_mov_b32_e32 v6, 0
	s_waitcnt lgkmcnt(0)
	s_add_u32 s0, s16, s20
	s_addc_u32 s1, s17, s21
	s_lshl_b64 s[18:19], s[18:19], 3
	s_load_dwordx2 s[16:17], s[0:1], 0x0
	s_clause 0x1
	s_load_dwordx4 s[8:11], s[4:5], 0x28
	s_load_dwordx2 s[12:13], s[4:5], 0x38
	v_cmp_gt_i32_e64 s0, s14, v0
	s_mul_hi_u32 s1, s22, s6
	s_mul_i32 s3, s23, s6
	v_cndmask_b32_e64 v1, 0, v0, s0
	v_lshlrev_b32_e32 v1, 3, v1
	s_waitcnt lgkmcnt(0)
	s_add_u32 s15, s16, s18
	s_addc_u32 s18, s17, s19
	s_add_u32 s8, s8, s20
	s_addc_u32 s9, s9, s21
	s_ashr_i32 s7, s6, 31
	s_load_dwordx2 s[8:9], s[8:9], 0x0
	s_mul_i32 s16, s22, s7
	s_add_i32 s1, s1, s16
	s_mul_i32 s16, s22, s6
	s_add_i32 s17, s1, s3
	v_add_co_u32 v1, s1, s15, v1
	v_add_co_ci_u32_e64 v2, null, s18, 0, s1
	s_lshl_b64 s[16:17], s[16:17], 3
	v_add_co_u32 v1, vcc_lo, v1, s16
	v_add_co_ci_u32_e64 v2, null, s17, v2, vcc_lo
	v_cmp_eq_u32_e32 vcc_lo, 0, v0
	s_and_saveexec_b32 s3, vcc_lo
	s_cbranch_execz .LBB83_2
; %bb.1:
	s_lshl_b64 s[16:17], s[10:11], 3
	s_mul_i32 s1, s12, s7
	s_waitcnt lgkmcnt(0)
	s_add_u32 s15, s8, s16
	s_mul_hi_u32 s16, s12, s6
	s_addc_u32 s20, s9, s17
	s_add_i32 s1, s16, s1
	s_mul_i32 s16, s13, s6
	s_lshl_b64 s[18:19], s[6:7], 3
	s_add_i32 s17, s1, s16
	s_mul_i32 s16, s12, s6
	v_add_co_u32 v3, s1, v1, s18
	s_lshl_b64 s[16:17], s[16:17], 3
	v_add_co_ci_u32_e64 v4, null, s19, v2, s1
	s_add_u32 s16, s15, s16
	s_addc_u32 s17, s20, s17
	v_mov_b32_e32 v5, s16
	v_mov_b32_e32 v6, s17
	flat_load_dwordx2 v[3:4], v[3:4]
	flat_load_dwordx2 v[5:6], v[5:6]
	s_waitcnt vmcnt(0) lgkmcnt(0)
	v_mul_f32_e32 v7, v4, v6
	v_mul_f32_e32 v4, v4, v5
	v_fmac_f32_e32 v7, v3, v5
	v_fma_f32 v3, v3, v6, -v4
	v_add_f32_e32 v5, 0, v7
	v_add_f32_e32 v6, 0, v3
.LBB83_2:
	s_or_b32 exec_lo, exec_lo, s3
	s_and_saveexec_b32 s3, s0
	s_cbranch_execz .LBB83_8
; %bb.3:
	v_mad_u64_u32 v[3:4], null, s12, v0, 0
	s_lshl_b64 s[0:1], s[10:11], 3
	s_mov_b32 s10, 0
	s_waitcnt lgkmcnt(0)
	s_add_u32 s0, s8, s0
	s_addc_u32 s1, s9, s1
	s_lshl_b64 s[8:9], s[12:13], 12
	v_mad_u64_u32 v[7:8], null, s13, v0, v[4:5]
	v_mov_b32_e32 v4, v7
	v_mov_b32_e32 v7, v0
	v_lshlrev_b64 v[3:4], 3, v[3:4]
	v_add_co_u32 v3, s0, s0, v3
	v_add_co_ci_u32_e64 v4, null, s1, v4, s0
	s_inst_prefetch 0x1
	s_branch .LBB83_5
	.p2align	6
.LBB83_4:                               ;   in Loop: Header=BB83_5 Depth=1
	s_or_b32 exec_lo, exec_lo, s1
	v_add_nc_u32_e32 v7, 0x200, v7
	v_add_co_u32 v3, s0, v3, s8
	v_add_co_ci_u32_e64 v4, null, s9, v4, s0
	v_cmp_le_i32_e64 s0, s14, v7
	v_add_co_u32 v1, s1, 0x1000, v1
	v_add_co_ci_u32_e64 v2, null, 0, v2, s1
	s_or_b32 s10, s0, s10
	s_andn2_b32 exec_lo, exec_lo, s10
	s_cbranch_execz .LBB83_7
.LBB83_5:                               ; =>This Inner Loop Header: Depth=1
	s_mov_b32 s1, exec_lo
	v_cmpx_lt_i32_e64 s6, v7
	s_cbranch_execz .LBB83_4
; %bb.6:                                ;   in Loop: Header=BB83_5 Depth=1
	flat_load_dwordx2 v[8:9], v[1:2]
	flat_load_dwordx2 v[10:11], v[3:4]
	s_waitcnt vmcnt(0) lgkmcnt(0)
	v_mul_f32_e32 v12, v9, v11
	v_mul_f32_e32 v9, v9, v10
	v_fmac_f32_e32 v12, v8, v10
	v_fma_f32 v8, v8, v11, -v9
	v_add_f32_e32 v5, v5, v12
	v_add_f32_e32 v6, v6, v8
	s_branch .LBB83_4
.LBB83_7:
	s_inst_prefetch 0x2
	s_or_b32 exec_lo, exec_lo, s10
.LBB83_8:
	s_or_b32 exec_lo, exec_lo, s3
	v_and_b32_e32 v1, 31, v0
	v_cmp_gt_u32_e64 s0, 32, v0
	v_lshlrev_b32_e32 v2, 3, v1
	s_and_saveexec_b32 s1, s0
; %bb.9:
	v_mov_b32_e32 v3, 0
	v_mov_b32_e32 v4, v3
	ds_write_b64 v2, v[3:4]
; %bb.10:
	s_or_b32 exec_lo, exec_lo, s1
	v_mbcnt_lo_u32_b32 v7, -1, 0
	s_mov_b32 s3, exec_lo
	s_waitcnt lgkmcnt(0)
	s_barrier
	buffer_gl0_inv
	v_lshl_or_b32 v3, v7, 2, 64
	v_cmp_gt_u32_e64 s1, 24, v7
	ds_bpermute_b32 v4, v3, v5
	ds_bpermute_b32 v8, v3, v6
	v_cndmask_b32_e64 v3, 0, 8, s1
	v_cmp_gt_u32_e64 s1, 28, v7
	v_add_lshl_u32 v3, v3, v7, 2
	s_waitcnt lgkmcnt(1)
	v_add_f32_e32 v5, v5, v4
	s_waitcnt lgkmcnt(0)
	v_add_f32_e32 v6, v6, v8
	v_cndmask_b32_e64 v4, 0, 4, s1
	v_cmp_gt_u32_e64 s1, 30, v7
	ds_bpermute_b32 v8, v3, v5
	ds_bpermute_b32 v9, v3, v6
	v_add_lshl_u32 v4, v4, v7, 2
	s_waitcnt lgkmcnt(1)
	v_add_f32_e32 v8, v5, v8
	s_waitcnt lgkmcnt(0)
	v_add_f32_e32 v6, v6, v9
	v_cndmask_b32_e64 v5, 0, 2, s1
	v_cmp_ne_u32_e64 s1, 31, v7
	ds_bpermute_b32 v9, v4, v8
	ds_bpermute_b32 v10, v4, v6
	v_add_lshl_u32 v5, v5, v7, 2
	s_waitcnt lgkmcnt(1)
	v_add_f32_e32 v8, v8, v9
	s_waitcnt lgkmcnt(0)
	v_add_f32_e32 v9, v6, v10
	v_add_co_ci_u32_e64 v6, null, 0, v7, s1
	ds_bpermute_b32 v10, v5, v8
	ds_bpermute_b32 v11, v5, v9
	v_lshlrev_b32_e32 v6, 2, v6
	s_waitcnt lgkmcnt(1)
	v_add_f32_e32 v7, v8, v10
	s_waitcnt lgkmcnt(0)
	v_add_f32_e32 v9, v9, v11
	ds_bpermute_b32 v8, v6, v7
	ds_bpermute_b32 v10, v6, v9
	v_cmpx_eq_u32_e32 0, v1
	s_cbranch_execz .LBB83_12
; %bb.11:
	v_lshrrev_b32_e32 v1, 2, v0
	s_waitcnt lgkmcnt(0)
	v_add_f32_e32 v9, v9, v10
	v_add_f32_e32 v8, v7, v8
	v_and_b32_e32 v1, 0x78, v1
	ds_write_b64 v1, v[8:9]
.LBB83_12:
	s_or_b32 exec_lo, exec_lo, s3
	v_cmp_gt_u32_e64 s1, 16, v0
	v_mov_b32_e32 v1, 0
	v_mov_b32_e32 v0, 0
	s_waitcnt lgkmcnt(0)
	s_barrier
	buffer_gl0_inv
	s_and_saveexec_b32 s3, s1
	s_cbranch_execnz .LBB83_16
; %bb.13:
	s_or_b32 exec_lo, exec_lo, s3
	s_and_saveexec_b32 s1, s0
	s_cbranch_execnz .LBB83_17
.LBB83_14:
	s_or_b32 exec_lo, exec_lo, s1
	s_and_saveexec_b32 s0, vcc_lo
	s_cbranch_execnz .LBB83_18
.LBB83_15:
	s_endpgm
.LBB83_16:
	ds_read_b64 v[0:1], v2
	s_or_b32 exec_lo, exec_lo, s3
	s_and_saveexec_b32 s1, s0
	s_cbranch_execz .LBB83_14
.LBB83_17:
	s_waitcnt lgkmcnt(0)
	ds_bpermute_b32 v2, v3, v0
	ds_bpermute_b32 v3, v3, v1
	s_waitcnt lgkmcnt(1)
	v_add_f32_e32 v0, v0, v2
	s_waitcnt lgkmcnt(0)
	v_add_f32_e32 v1, v1, v3
	ds_bpermute_b32 v2, v4, v0
	ds_bpermute_b32 v3, v4, v1
	s_waitcnt lgkmcnt(1)
	v_add_f32_e32 v0, v0, v2
	s_waitcnt lgkmcnt(0)
	v_add_f32_e32 v1, v1, v3
	;; [unrolled: 6-line block ×4, first 2 shown]
	s_or_b32 exec_lo, exec_lo, s1
	s_and_saveexec_b32 s0, vcc_lo
	s_cbranch_execz .LBB83_15
.LBB83_18:
	s_load_dwordx4 s[8:11], s[4:5], 0x48
	v_mov_b32_e32 v2, 0
	s_waitcnt lgkmcnt(0)
	s_mul_i32 s1, s11, s2
	s_mul_hi_u32 s3, s10, s2
	s_mul_i32 s0, s10, s2
	s_add_i32 s1, s3, s1
	s_lshl_b64 s[0:1], s[0:1], 3
	s_add_u32 s2, s8, s0
	s_addc_u32 s3, s9, s1
	s_lshl_b64 s[0:1], s[6:7], 3
	s_add_u32 s0, s2, s0
	s_addc_u32 s1, s3, s1
	global_store_dwordx2 v2, v[0:1], s[0:1]
	s_endpgm
	.section	.rodata,"a",@progbits
	.p2align	6, 0x0
	.amdhsa_kernel _ZL20rocblas_trmvt_kernelILi512ELb1ELb1ELb0EPKPK19rocblas_complex_numIfEPKPS1_S6_EviT3_lllT4_lllT5_li
		.amdhsa_group_segment_fixed_size 256
		.amdhsa_private_segment_fixed_size 0
		.amdhsa_kernarg_size 92
		.amdhsa_user_sgpr_count 6
		.amdhsa_user_sgpr_private_segment_buffer 1
		.amdhsa_user_sgpr_dispatch_ptr 0
		.amdhsa_user_sgpr_queue_ptr 0
		.amdhsa_user_sgpr_kernarg_segment_ptr 1
		.amdhsa_user_sgpr_dispatch_id 0
		.amdhsa_user_sgpr_flat_scratch_init 0
		.amdhsa_user_sgpr_private_segment_size 0
		.amdhsa_wavefront_size32 1
		.amdhsa_uses_dynamic_stack 0
		.amdhsa_system_sgpr_private_segment_wavefront_offset 0
		.amdhsa_system_sgpr_workgroup_id_x 1
		.amdhsa_system_sgpr_workgroup_id_y 0
		.amdhsa_system_sgpr_workgroup_id_z 1
		.amdhsa_system_sgpr_workgroup_info 0
		.amdhsa_system_vgpr_workitem_id 0
		.amdhsa_next_free_vgpr 13
		.amdhsa_next_free_sgpr 24
		.amdhsa_reserve_vcc 1
		.amdhsa_reserve_flat_scratch 0
		.amdhsa_float_round_mode_32 0
		.amdhsa_float_round_mode_16_64 0
		.amdhsa_float_denorm_mode_32 3
		.amdhsa_float_denorm_mode_16_64 3
		.amdhsa_dx10_clamp 1
		.amdhsa_ieee_mode 1
		.amdhsa_fp16_overflow 0
		.amdhsa_workgroup_processor_mode 1
		.amdhsa_memory_ordered 1
		.amdhsa_forward_progress 1
		.amdhsa_shared_vgpr_count 0
		.amdhsa_exception_fp_ieee_invalid_op 0
		.amdhsa_exception_fp_denorm_src 0
		.amdhsa_exception_fp_ieee_div_zero 0
		.amdhsa_exception_fp_ieee_overflow 0
		.amdhsa_exception_fp_ieee_underflow 0
		.amdhsa_exception_fp_ieee_inexact 0
		.amdhsa_exception_int_div_zero 0
	.end_amdhsa_kernel
	.section	.text._ZL20rocblas_trmvt_kernelILi512ELb1ELb1ELb0EPKPK19rocblas_complex_numIfEPKPS1_S6_EviT3_lllT4_lllT5_li,"axG",@progbits,_ZL20rocblas_trmvt_kernelILi512ELb1ELb1ELb0EPKPK19rocblas_complex_numIfEPKPS1_S6_EviT3_lllT4_lllT5_li,comdat
.Lfunc_end83:
	.size	_ZL20rocblas_trmvt_kernelILi512ELb1ELb1ELb0EPKPK19rocblas_complex_numIfEPKPS1_S6_EviT3_lllT4_lllT5_li, .Lfunc_end83-_ZL20rocblas_trmvt_kernelILi512ELb1ELb1ELb0EPKPK19rocblas_complex_numIfEPKPS1_S6_EviT3_lllT4_lllT5_li
                                        ; -- End function
	.set _ZL20rocblas_trmvt_kernelILi512ELb1ELb1ELb0EPKPK19rocblas_complex_numIfEPKPS1_S6_EviT3_lllT4_lllT5_li.num_vgpr, 13
	.set _ZL20rocblas_trmvt_kernelILi512ELb1ELb1ELb0EPKPK19rocblas_complex_numIfEPKPS1_S6_EviT3_lllT4_lllT5_li.num_agpr, 0
	.set _ZL20rocblas_trmvt_kernelILi512ELb1ELb1ELb0EPKPK19rocblas_complex_numIfEPKPS1_S6_EviT3_lllT4_lllT5_li.numbered_sgpr, 24
	.set _ZL20rocblas_trmvt_kernelILi512ELb1ELb1ELb0EPKPK19rocblas_complex_numIfEPKPS1_S6_EviT3_lllT4_lllT5_li.num_named_barrier, 0
	.set _ZL20rocblas_trmvt_kernelILi512ELb1ELb1ELb0EPKPK19rocblas_complex_numIfEPKPS1_S6_EviT3_lllT4_lllT5_li.private_seg_size, 0
	.set _ZL20rocblas_trmvt_kernelILi512ELb1ELb1ELb0EPKPK19rocblas_complex_numIfEPKPS1_S6_EviT3_lllT4_lllT5_li.uses_vcc, 1
	.set _ZL20rocblas_trmvt_kernelILi512ELb1ELb1ELb0EPKPK19rocblas_complex_numIfEPKPS1_S6_EviT3_lllT4_lllT5_li.uses_flat_scratch, 0
	.set _ZL20rocblas_trmvt_kernelILi512ELb1ELb1ELb0EPKPK19rocblas_complex_numIfEPKPS1_S6_EviT3_lllT4_lllT5_li.has_dyn_sized_stack, 0
	.set _ZL20rocblas_trmvt_kernelILi512ELb1ELb1ELb0EPKPK19rocblas_complex_numIfEPKPS1_S6_EviT3_lllT4_lllT5_li.has_recursion, 0
	.set _ZL20rocblas_trmvt_kernelILi512ELb1ELb1ELb0EPKPK19rocblas_complex_numIfEPKPS1_S6_EviT3_lllT4_lllT5_li.has_indirect_call, 0
	.section	.AMDGPU.csdata,"",@progbits
; Kernel info:
; codeLenInByte = 1252
; TotalNumSgprs: 26
; NumVgprs: 13
; ScratchSize: 0
; MemoryBound: 0
; FloatMode: 240
; IeeeMode: 1
; LDSByteSize: 256 bytes/workgroup (compile time only)
; SGPRBlocks: 0
; VGPRBlocks: 1
; NumSGPRsForWavesPerEU: 26
; NumVGPRsForWavesPerEU: 13
; Occupancy: 16
; WaveLimiterHint : 1
; COMPUTE_PGM_RSRC2:SCRATCH_EN: 0
; COMPUTE_PGM_RSRC2:USER_SGPR: 6
; COMPUTE_PGM_RSRC2:TRAP_HANDLER: 0
; COMPUTE_PGM_RSRC2:TGID_X_EN: 1
; COMPUTE_PGM_RSRC2:TGID_Y_EN: 0
; COMPUTE_PGM_RSRC2:TGID_Z_EN: 1
; COMPUTE_PGM_RSRC2:TIDIG_COMP_CNT: 0
	.section	.text._ZL20rocblas_trmvn_kernelILi64ELi16ELb0ELb1EPKPK19rocblas_complex_numIdEPKPS1_S6_EviT3_lllT4_lllT5_li,"axG",@progbits,_ZL20rocblas_trmvn_kernelILi64ELi16ELb0ELb1EPKPK19rocblas_complex_numIdEPKPS1_S6_EviT3_lllT4_lllT5_li,comdat
	.globl	_ZL20rocblas_trmvn_kernelILi64ELi16ELb0ELb1EPKPK19rocblas_complex_numIdEPKPS1_S6_EviT3_lllT4_lllT5_li ; -- Begin function _ZL20rocblas_trmvn_kernelILi64ELi16ELb0ELb1EPKPK19rocblas_complex_numIdEPKPS1_S6_EviT3_lllT4_lllT5_li
	.p2align	8
	.type	_ZL20rocblas_trmvn_kernelILi64ELi16ELb0ELb1EPKPK19rocblas_complex_numIdEPKPS1_S6_EviT3_lllT4_lllT5_li,@function
_ZL20rocblas_trmvn_kernelILi64ELi16ELb0ELb1EPKPK19rocblas_complex_numIdEPKPS1_S6_EviT3_lllT4_lllT5_li: ; @_ZL20rocblas_trmvn_kernelILi64ELi16ELb0ELb1EPKPK19rocblas_complex_numIdEPKPS1_S6_EviT3_lllT4_lllT5_li
; %bb.0:
	s_clause 0x1
	s_load_dwordx4 s[0:3], s[4:5], 0x8
	s_load_dwordx4 s[8:11], s[4:5], 0x28
	s_mov_b32 s12, s7
	s_mov_b32 s13, 0
	s_clause 0x1
	s_load_dword s18, s[4:5], 0x0
	s_load_dwordx2 s[14:15], s[4:5], 0x38
	s_lshl_b64 s[20:21], s[12:13], 3
	v_lshl_add_u32 v6, s6, 6, v0
	v_mov_b32_e32 v2, 0
	v_mov_b32_e32 v3, 0
	;; [unrolled: 1-line block ×4, first 2 shown]
	s_waitcnt lgkmcnt(0)
	s_add_u32 s16, s0, s20
	s_addc_u32 s17, s1, s21
	s_add_u32 s0, s8, s20
	s_addc_u32 s1, s9, s21
	v_cmp_gt_i32_e32 vcc_lo, s18, v6
	s_load_dwordx2 s[8:9], s[0:1], 0x0
	v_cmp_eq_u32_e64 s0, 0, v1
	s_and_b32 s0, s0, vcc_lo
	s_and_saveexec_b32 s1, s0
	s_cbranch_execz .LBB84_2
; %bb.1:
	v_ashrrev_i32_e32 v4, 31, v6
	v_mul_lo_u32 v5, s15, v6
	v_mad_u64_u32 v[2:3], null, s14, v6, 0
	s_lshl_b64 s[6:7], s[10:11], 4
	v_mul_lo_u32 v4, s14, v4
	s_waitcnt lgkmcnt(0)
	s_add_u32 s0, s8, s6
	s_addc_u32 s6, s9, s7
	v_add3_u32 v3, v3, v4, v5
	v_lshlrev_b64 v[2:3], 4, v[2:3]
	v_add_co_u32 v2, s0, s0, v2
	v_add_co_ci_u32_e64 v3, null, s6, v3, s0
	flat_load_dwordx4 v[2:5], v[2:3]
.LBB84_2:
	s_or_b32 exec_lo, exec_lo, s1
	s_load_dword s13, s[4:5], 0x6c
	s_mov_b32 s19, exec_lo
	v_cmpx_gt_i32_e64 s18, v1
	s_cbranch_execz .LBB84_8
; %bb.3:
	s_load_dwordx2 s[6:7], s[4:5], 0x18
	v_mad_u64_u32 v[10:11], null, s14, v1, 0
	s_load_dwordx2 s[16:17], s[16:17], 0x0
	s_lshl_b64 s[0:1], s[10:11], 4
	s_waitcnt lgkmcnt(0)
	s_add_u32 s8, s8, s0
	s_addc_u32 s9, s9, s1
	s_lshl_b64 s[0:1], s[2:3], 4
	s_lshl_b64 s[2:3], s[14:15], 8
	v_mad_u64_u32 v[8:9], null, s6, v1, 0
	v_mov_b32_e32 v7, v9
	v_mad_u64_u32 v[12:13], null, s7, v1, v[7:8]
	v_mov_b32_e32 v7, v11
	s_lshl_b64 s[6:7], s[6:7], 8
	v_mov_b32_e32 v9, v12
	v_mad_u64_u32 v[11:12], null, s15, v1, v[7:8]
	v_ashrrev_i32_e32 v7, 31, v6
	v_lshlrev_b64 v[8:9], 4, v[8:9]
	v_lshlrev_b64 v[12:13], 4, v[6:7]
	v_add_co_u32 v14, s0, v8, s0
	v_add_co_ci_u32_e64 v9, null, s1, v9, s0
	v_lshlrev_b64 v[7:8], 4, v[10:11]
	v_add_co_u32 v10, s0, v14, v12
	v_add_co_ci_u32_e64 v11, null, v9, v13, s0
	v_add_co_u32 v7, s0, s8, v7
	v_add_co_ci_u32_e64 v8, null, s9, v8, s0
	v_add_co_u32 v9, s0, s16, v10
	v_add_co_ci_u32_e64 v10, null, s17, v11, s0
	v_mov_b32_e32 v11, v1
	s_mov_b32 s8, 0
	s_inst_prefetch 0x1
	s_branch .LBB84_5
	.p2align	6
.LBB84_4:                               ;   in Loop: Header=BB84_5 Depth=1
	s_or_b32 exec_lo, exec_lo, s1
	v_add_nc_u32_e32 v11, 16, v11
	v_add_co_u32 v7, s0, v7, s2
	v_add_co_ci_u32_e64 v8, null, s3, v8, s0
	v_cmp_le_i32_e64 s0, s18, v11
	v_add_co_u32 v9, s1, v9, s6
	v_add_co_ci_u32_e64 v10, null, s7, v10, s1
	s_or_b32 s8, s0, s8
	s_andn2_b32 exec_lo, exec_lo, s8
	s_cbranch_execz .LBB84_7
.LBB84_5:                               ; =>This Inner Loop Header: Depth=1
	s_mov_b32 s1, exec_lo
	v_cmpx_gt_i32_e64 v11, v6
	s_cbranch_execz .LBB84_4
; %bb.6:                                ;   in Loop: Header=BB84_5 Depth=1
	flat_load_dwordx4 v[12:15], v[7:8]
	flat_load_dwordx4 v[16:19], v[9:10]
	s_waitcnt vmcnt(0) lgkmcnt(0)
	v_mul_f64 v[20:21], v[14:15], v[18:19]
	v_mul_f64 v[18:19], v[12:13], v[18:19]
	v_fma_f64 v[12:13], v[12:13], v[16:17], -v[20:21]
	v_fma_f64 v[14:15], v[14:15], v[16:17], v[18:19]
	v_add_f64 v[2:3], v[2:3], v[12:13]
	v_add_f64 v[4:5], v[4:5], v[14:15]
	s_branch .LBB84_4
.LBB84_7:
	s_inst_prefetch 0x2
	s_or_b32 exec_lo, exec_lo, s8
.LBB84_8:
	s_or_b32 exec_lo, exec_lo, s19
	v_lshlrev_b32_e32 v7, 4, v0
	s_waitcnt lgkmcnt(0)
	s_and_b32 s1, 0xffff, s13
	s_mov_b32 s2, exec_lo
	v_mad_u32_u24 v0, v1, s1, v0
	v_lshl_add_u32 v8, v1, 10, v7
	s_waitcnt vmcnt(0)
	ds_write_b128 v8, v[2:5]
	s_waitcnt lgkmcnt(0)
	s_barrier
	buffer_gl0_inv
	v_cmpx_gt_u32_e32 64, v0
	s_cbranch_execz .LBB84_11
; %bb.9:
	v_mul_u32_u24_e32 v0, s1, v1
	v_lshl_add_u32 v0, v0, 4, v7
	ds_read_b128 v[1:4], v0
	ds_read_b128 v[7:10], v0 offset:1024
	s_waitcnt lgkmcnt(0)
	v_add_f64 v[11:12], v[1:2], v[7:8]
	v_add_f64 v[13:14], v[3:4], v[9:10]
	ds_read_b128 v[1:4], v0 offset:2048
	ds_read_b128 v[7:10], v0 offset:3072
	s_waitcnt lgkmcnt(1)
	v_add_f64 v[1:2], v[11:12], v[1:2]
	v_add_f64 v[3:4], v[13:14], v[3:4]
	s_waitcnt lgkmcnt(0)
	v_add_f64 v[11:12], v[1:2], v[7:8]
	v_add_f64 v[13:14], v[3:4], v[9:10]
	ds_read_b128 v[1:4], v0 offset:4096
	ds_read_b128 v[7:10], v0 offset:5120
	s_waitcnt lgkmcnt(1)
	v_add_f64 v[1:2], v[11:12], v[1:2]
	v_add_f64 v[3:4], v[13:14], v[3:4]
	;; [unrolled: 8-line block ×7, first 2 shown]
	s_waitcnt lgkmcnt(0)
	v_add_f64 v[1:2], v[1:2], v[7:8]
	v_add_f64 v[3:4], v[3:4], v[9:10]
	ds_write_b128 v0, v[1:4]
	s_and_b32 exec_lo, exec_lo, vcc_lo
	s_cbranch_execz .LBB84_11
; %bb.10:
	s_load_dwordx4 s[0:3], s[4:5], 0x48
	ds_read2_b64 v[0:3], v0 offset1:1
	v_ashrrev_i32_e32 v7, 31, v6
	v_lshlrev_b64 v[4:5], 4, v[6:7]
	s_waitcnt lgkmcnt(0)
	s_mul_i32 s3, s3, s12
	s_mul_hi_u32 s4, s2, s12
	s_mul_i32 s2, s2, s12
	s_add_i32 s3, s4, s3
	s_lshl_b64 s[2:3], s[2:3], 4
	s_add_u32 s0, s0, s2
	s_addc_u32 s1, s1, s3
	v_add_co_u32 v4, vcc_lo, s0, v4
	v_add_co_ci_u32_e64 v5, null, s1, v5, vcc_lo
	global_store_dwordx4 v[4:5], v[0:3], off
.LBB84_11:
	s_endpgm
	.section	.rodata,"a",@progbits
	.p2align	6, 0x0
	.amdhsa_kernel _ZL20rocblas_trmvn_kernelILi64ELi16ELb0ELb1EPKPK19rocblas_complex_numIdEPKPS1_S6_EviT3_lllT4_lllT5_li
		.amdhsa_group_segment_fixed_size 16384
		.amdhsa_private_segment_fixed_size 0
		.amdhsa_kernarg_size 352
		.amdhsa_user_sgpr_count 6
		.amdhsa_user_sgpr_private_segment_buffer 1
		.amdhsa_user_sgpr_dispatch_ptr 0
		.amdhsa_user_sgpr_queue_ptr 0
		.amdhsa_user_sgpr_kernarg_segment_ptr 1
		.amdhsa_user_sgpr_dispatch_id 0
		.amdhsa_user_sgpr_flat_scratch_init 0
		.amdhsa_user_sgpr_private_segment_size 0
		.amdhsa_wavefront_size32 1
		.amdhsa_uses_dynamic_stack 0
		.amdhsa_system_sgpr_private_segment_wavefront_offset 0
		.amdhsa_system_sgpr_workgroup_id_x 1
		.amdhsa_system_sgpr_workgroup_id_y 0
		.amdhsa_system_sgpr_workgroup_id_z 1
		.amdhsa_system_sgpr_workgroup_info 0
		.amdhsa_system_vgpr_workitem_id 1
		.amdhsa_next_free_vgpr 22
		.amdhsa_next_free_sgpr 22
		.amdhsa_reserve_vcc 1
		.amdhsa_reserve_flat_scratch 0
		.amdhsa_float_round_mode_32 0
		.amdhsa_float_round_mode_16_64 0
		.amdhsa_float_denorm_mode_32 3
		.amdhsa_float_denorm_mode_16_64 3
		.amdhsa_dx10_clamp 1
		.amdhsa_ieee_mode 1
		.amdhsa_fp16_overflow 0
		.amdhsa_workgroup_processor_mode 1
		.amdhsa_memory_ordered 1
		.amdhsa_forward_progress 1
		.amdhsa_shared_vgpr_count 0
		.amdhsa_exception_fp_ieee_invalid_op 0
		.amdhsa_exception_fp_denorm_src 0
		.amdhsa_exception_fp_ieee_div_zero 0
		.amdhsa_exception_fp_ieee_overflow 0
		.amdhsa_exception_fp_ieee_underflow 0
		.amdhsa_exception_fp_ieee_inexact 0
		.amdhsa_exception_int_div_zero 0
	.end_amdhsa_kernel
	.section	.text._ZL20rocblas_trmvn_kernelILi64ELi16ELb0ELb1EPKPK19rocblas_complex_numIdEPKPS1_S6_EviT3_lllT4_lllT5_li,"axG",@progbits,_ZL20rocblas_trmvn_kernelILi64ELi16ELb0ELb1EPKPK19rocblas_complex_numIdEPKPS1_S6_EviT3_lllT4_lllT5_li,comdat
.Lfunc_end84:
	.size	_ZL20rocblas_trmvn_kernelILi64ELi16ELb0ELb1EPKPK19rocblas_complex_numIdEPKPS1_S6_EviT3_lllT4_lllT5_li, .Lfunc_end84-_ZL20rocblas_trmvn_kernelILi64ELi16ELb0ELb1EPKPK19rocblas_complex_numIdEPKPS1_S6_EviT3_lllT4_lllT5_li
                                        ; -- End function
	.set _ZL20rocblas_trmvn_kernelILi64ELi16ELb0ELb1EPKPK19rocblas_complex_numIdEPKPS1_S6_EviT3_lllT4_lllT5_li.num_vgpr, 22
	.set _ZL20rocblas_trmvn_kernelILi64ELi16ELb0ELb1EPKPK19rocblas_complex_numIdEPKPS1_S6_EviT3_lllT4_lllT5_li.num_agpr, 0
	.set _ZL20rocblas_trmvn_kernelILi64ELi16ELb0ELb1EPKPK19rocblas_complex_numIdEPKPS1_S6_EviT3_lllT4_lllT5_li.numbered_sgpr, 22
	.set _ZL20rocblas_trmvn_kernelILi64ELi16ELb0ELb1EPKPK19rocblas_complex_numIdEPKPS1_S6_EviT3_lllT4_lllT5_li.num_named_barrier, 0
	.set _ZL20rocblas_trmvn_kernelILi64ELi16ELb0ELb1EPKPK19rocblas_complex_numIdEPKPS1_S6_EviT3_lllT4_lllT5_li.private_seg_size, 0
	.set _ZL20rocblas_trmvn_kernelILi64ELi16ELb0ELb1EPKPK19rocblas_complex_numIdEPKPS1_S6_EviT3_lllT4_lllT5_li.uses_vcc, 1
	.set _ZL20rocblas_trmvn_kernelILi64ELi16ELb0ELb1EPKPK19rocblas_complex_numIdEPKPS1_S6_EviT3_lllT4_lllT5_li.uses_flat_scratch, 0
	.set _ZL20rocblas_trmvn_kernelILi64ELi16ELb0ELb1EPKPK19rocblas_complex_numIdEPKPS1_S6_EviT3_lllT4_lllT5_li.has_dyn_sized_stack, 0
	.set _ZL20rocblas_trmvn_kernelILi64ELi16ELb0ELb1EPKPK19rocblas_complex_numIdEPKPS1_S6_EviT3_lllT4_lllT5_li.has_recursion, 0
	.set _ZL20rocblas_trmvn_kernelILi64ELi16ELb0ELb1EPKPK19rocblas_complex_numIdEPKPS1_S6_EviT3_lllT4_lllT5_li.has_indirect_call, 0
	.section	.AMDGPU.csdata,"",@progbits
; Kernel info:
; codeLenInByte = 1224
; TotalNumSgprs: 24
; NumVgprs: 22
; ScratchSize: 0
; MemoryBound: 1
; FloatMode: 240
; IeeeMode: 1
; LDSByteSize: 16384 bytes/workgroup (compile time only)
; SGPRBlocks: 0
; VGPRBlocks: 2
; NumSGPRsForWavesPerEU: 24
; NumVGPRsForWavesPerEU: 22
; Occupancy: 16
; WaveLimiterHint : 1
; COMPUTE_PGM_RSRC2:SCRATCH_EN: 0
; COMPUTE_PGM_RSRC2:USER_SGPR: 6
; COMPUTE_PGM_RSRC2:TRAP_HANDLER: 0
; COMPUTE_PGM_RSRC2:TGID_X_EN: 1
; COMPUTE_PGM_RSRC2:TGID_Y_EN: 0
; COMPUTE_PGM_RSRC2:TGID_Z_EN: 1
; COMPUTE_PGM_RSRC2:TIDIG_COMP_CNT: 1
	.section	.text._ZL20rocblas_trmvt_kernelILi512ELb0ELb0ELb1EPKPK19rocblas_complex_numIdEPKPS1_S6_EviT3_lllT4_lllT5_li,"axG",@progbits,_ZL20rocblas_trmvt_kernelILi512ELb0ELb0ELb1EPKPK19rocblas_complex_numIdEPKPS1_S6_EviT3_lllT4_lllT5_li,comdat
	.globl	_ZL20rocblas_trmvt_kernelILi512ELb0ELb0ELb1EPKPK19rocblas_complex_numIdEPKPS1_S6_EviT3_lllT4_lllT5_li ; -- Begin function _ZL20rocblas_trmvt_kernelILi512ELb0ELb0ELb1EPKPK19rocblas_complex_numIdEPKPS1_S6_EviT3_lllT4_lllT5_li
	.p2align	8
	.type	_ZL20rocblas_trmvt_kernelILi512ELb0ELb0ELb1EPKPK19rocblas_complex_numIdEPKPS1_S6_EviT3_lllT4_lllT5_li,@function
_ZL20rocblas_trmvt_kernelILi512ELb0ELb0ELb1EPKPK19rocblas_complex_numIdEPKPS1_S6_EviT3_lllT4_lllT5_li: ; @_ZL20rocblas_trmvt_kernelILi512ELb0ELb0ELb1EPKPK19rocblas_complex_numIdEPKPS1_S6_EviT3_lllT4_lllT5_li
; %bb.0:
	s_clause 0x1
	s_load_dwordx4 s[8:11], s[4:5], 0x8
	s_load_dwordx4 s[0:3], s[4:5], 0x28
	s_mov_b32 s12, s7
	s_mov_b32 s13, 0
	v_mov_b32_e32 v3, 0
	s_lshl_b64 s[14:15], s[12:13], 3
	v_mov_b32_e32 v1, 0
	v_mov_b32_e32 v4, 0
	;; [unrolled: 1-line block ×3, first 2 shown]
	v_cmp_eq_u32_e32 vcc_lo, 0, v0
	s_waitcnt lgkmcnt(0)
	s_add_u32 s16, s8, s14
	s_addc_u32 s17, s9, s15
	s_add_u32 s0, s0, s14
	s_addc_u32 s1, s1, s15
	s_load_dwordx2 s[8:9], s[4:5], 0x38
	s_load_dwordx2 s[14:15], s[0:1], 0x0
	s_ashr_i32 s7, s6, 31
	s_and_saveexec_b32 s0, vcc_lo
	s_cbranch_execz .LBB85_2
; %bb.1:
	s_lshl_b64 s[18:19], s[2:3], 4
	s_waitcnt lgkmcnt(0)
	s_mul_i32 s1, s8, s7
	s_add_u32 s13, s14, s18
	s_mul_hi_u32 s18, s8, s6
	s_addc_u32 s20, s15, s19
	s_add_i32 s1, s18, s1
	s_mul_i32 s18, s9, s6
	s_add_i32 s19, s1, s18
	s_mul_i32 s18, s8, s6
	s_lshl_b64 s[18:19], s[18:19], 4
	s_add_u32 s18, s13, s18
	s_addc_u32 s19, s20, s19
	v_mov_b32_e32 v1, s18
	v_mov_b32_e32 v2, s19
	flat_load_dwordx4 v[3:6], v[1:2]
	s_waitcnt vmcnt(0) lgkmcnt(0)
	v_add_f64 v[3:4], v[3:4], 0
	v_add_f64 v[1:2], v[5:6], 0
.LBB85_2:
	s_or_b32 exec_lo, exec_lo, s0
	s_load_dword s18, s[4:5], 0x0
	s_waitcnt lgkmcnt(0)
	v_cmp_gt_i32_e64 s0, s18, v0
	s_and_saveexec_b32 s13, s0
	s_cbranch_execz .LBB85_8
; %bb.3:
	s_load_dwordx2 s[16:17], s[16:17], 0x0
	s_load_dwordx2 s[20:21], s[4:5], 0x18
	v_mad_u64_u32 v[5:6], null, s8, v0, 0
	v_cndmask_b32_e64 v8, 0, v0, s0
	s_lshl_b64 s[0:1], s[10:11], 4
	v_mad_u64_u32 v[6:7], null, s9, v0, v[6:7]
	v_lshlrev_b32_e32 v7, 4, v8
	s_waitcnt lgkmcnt(0)
	s_add_u32 s10, s16, s0
	s_mul_i32 s11, s20, s7
	s_mul_hi_u32 s16, s20, s6
	s_mul_i32 s19, s21, s6
	s_addc_u32 s17, s17, s1
	s_add_i32 s1, s16, s11
	v_add_co_u32 v9, s10, s10, v7
	s_mul_i32 s0, s20, s6
	s_add_i32 s1, s1, s19
	v_add_co_ci_u32_e64 v10, null, s17, 0, s10
	s_lshl_b64 s[0:1], s[0:1], 4
	v_lshlrev_b64 v[7:8], 4, v[5:6]
	s_lshl_b64 s[2:3], s[2:3], 4
	v_add_co_u32 v5, s0, v9, s0
	v_add_co_ci_u32_e64 v6, null, s1, v10, s0
	s_add_u32 s0, s14, s2
	s_addc_u32 s1, s15, s3
	v_add_co_u32 v7, s0, s0, v7
	v_add_co_ci_u32_e64 v8, null, s1, v8, s0
	v_mov_b32_e32 v9, v0
	s_mov_b32 s10, 0
	s_lshl_b64 s[2:3], s[8:9], 13
	s_inst_prefetch 0x1
	s_branch .LBB85_5
	.p2align	6
.LBB85_4:                               ;   in Loop: Header=BB85_5 Depth=1
	s_or_b32 exec_lo, exec_lo, s1
	v_add_nc_u32_e32 v9, 0x200, v9
	v_add_co_u32 v7, s0, v7, s2
	v_add_co_ci_u32_e64 v8, null, s3, v8, s0
	v_cmp_le_i32_e64 s0, s18, v9
	v_add_co_u32 v5, s1, 0x2000, v5
	v_add_co_ci_u32_e64 v6, null, 0, v6, s1
	s_or_b32 s10, s0, s10
	s_andn2_b32 exec_lo, exec_lo, s10
	s_cbranch_execz .LBB85_7
.LBB85_5:                               ; =>This Inner Loop Header: Depth=1
	s_mov_b32 s1, exec_lo
	v_cmpx_gt_i32_e64 s6, v9
	s_cbranch_execz .LBB85_4
; %bb.6:                                ;   in Loop: Header=BB85_5 Depth=1
	flat_load_dwordx4 v[10:13], v[5:6]
	flat_load_dwordx4 v[14:17], v[7:8]
	s_waitcnt vmcnt(0) lgkmcnt(0)
	v_mul_f64 v[18:19], v[12:13], v[16:17]
	v_mul_f64 v[16:17], v[10:11], v[16:17]
	v_fma_f64 v[10:11], v[10:11], v[14:15], -v[18:19]
	v_fma_f64 v[12:13], v[12:13], v[14:15], v[16:17]
	v_add_f64 v[3:4], v[3:4], v[10:11]
	v_add_f64 v[1:2], v[1:2], v[12:13]
	s_branch .LBB85_4
.LBB85_7:
	s_inst_prefetch 0x2
	s_or_b32 exec_lo, exec_lo, s10
.LBB85_8:
	s_or_b32 exec_lo, exec_lo, s13
	v_and_b32_e32 v14, 31, v0
	v_cmp_gt_u32_e64 s0, 32, v0
	v_lshlrev_b32_e32 v9, 4, v14
	s_and_saveexec_b32 s1, s0
	s_cbranch_execz .LBB85_10
; %bb.9:
	v_mov_b32_e32 v5, 0
	v_mov_b32_e32 v6, v5
	;; [unrolled: 1-line block ×4, first 2 shown]
	ds_write_b128 v9, v[5:8]
.LBB85_10:
	s_or_b32 exec_lo, exec_lo, s1
	v_mbcnt_lo_u32_b32 v13, -1, 0
	s_mov_b32 s2, exec_lo
	s_waitcnt lgkmcnt(0)
	s_barrier
	buffer_gl0_inv
	v_lshl_or_b32 v8, v13, 2, 64
	v_cmp_gt_u32_e64 s1, 24, v13
	ds_bpermute_b32 v5, v8, v3
	ds_bpermute_b32 v6, v8, v4
	;; [unrolled: 1-line block ×4, first 2 shown]
	s_waitcnt lgkmcnt(2)
	v_add_f64 v[3:4], v[3:4], v[5:6]
	v_cndmask_b32_e64 v5, 0, 8, s1
	s_waitcnt lgkmcnt(0)
	v_add_f64 v[1:2], v[1:2], v[7:8]
	v_cmp_gt_u32_e64 s1, 28, v13
	v_add_lshl_u32 v10, v5, v13, 2
	ds_bpermute_b32 v5, v10, v3
	ds_bpermute_b32 v6, v10, v4
	ds_bpermute_b32 v7, v10, v1
	ds_bpermute_b32 v8, v10, v2
	s_waitcnt lgkmcnt(2)
	v_add_f64 v[3:4], v[3:4], v[5:6]
	v_cndmask_b32_e64 v5, 0, 4, s1
	s_waitcnt lgkmcnt(0)
	v_add_f64 v[1:2], v[1:2], v[7:8]
	v_cmp_gt_u32_e64 s1, 30, v13
	v_add_lshl_u32 v11, v5, v13, 2
	ds_bpermute_b32 v5, v11, v3
	ds_bpermute_b32 v6, v11, v4
	;; [unrolled: 1-line block ×4, first 2 shown]
	s_waitcnt lgkmcnt(2)
	v_add_f64 v[3:4], v[3:4], v[5:6]
	s_waitcnt lgkmcnt(0)
	v_add_f64 v[5:6], v[1:2], v[7:8]
	v_cndmask_b32_e64 v1, 0, 2, s1
	v_cmp_ne_u32_e64 s1, 31, v13
	v_add_lshl_u32 v12, v1, v13, 2
	ds_bpermute_b32 v1, v12, v3
	ds_bpermute_b32 v2, v12, v4
	;; [unrolled: 1-line block ×4, first 2 shown]
	s_waitcnt lgkmcnt(2)
	v_add_f64 v[1:2], v[3:4], v[1:2]
	s_waitcnt lgkmcnt(0)
	v_add_f64 v[3:4], v[5:6], v[7:8]
	v_add_co_ci_u32_e64 v5, null, 0, v13, s1
	v_lshlrev_b32_e32 v13, 2, v5
	ds_bpermute_b32 v5, v13, v1
	ds_bpermute_b32 v6, v13, v2
	;; [unrolled: 1-line block ×4, first 2 shown]
	v_cmpx_eq_u32_e32 0, v14
	s_cbranch_execz .LBB85_12
; %bb.11:
	s_waitcnt lgkmcnt(0)
	v_add_f64 v[3:4], v[3:4], v[7:8]
	v_add_f64 v[1:2], v[1:2], v[5:6]
	v_lshrrev_b32_e32 v5, 1, v0
	v_and_b32_e32 v5, 0xf0, v5
	ds_write_b128 v5, v[1:4]
.LBB85_12:
	s_or_b32 exec_lo, exec_lo, s2
	v_mov_b32_e32 v3, 0
	v_mov_b32_e32 v1, 0
	;; [unrolled: 1-line block ×4, first 2 shown]
	s_mov_b32 s2, exec_lo
	s_waitcnt lgkmcnt(0)
	s_barrier
	buffer_gl0_inv
	v_cmpx_gt_u32_e32 16, v0
	s_cbranch_execnz .LBB85_16
; %bb.13:
	s_or_b32 exec_lo, exec_lo, s2
	s_and_saveexec_b32 s1, s0
	s_cbranch_execnz .LBB85_17
.LBB85_14:
	s_or_b32 exec_lo, exec_lo, s1
	s_and_saveexec_b32 s0, vcc_lo
	s_cbranch_execnz .LBB85_18
.LBB85_15:
	s_endpgm
.LBB85_16:
	ds_read_b128 v[1:4], v9
	s_or_b32 exec_lo, exec_lo, s2
	s_and_saveexec_b32 s1, s0
	s_cbranch_execz .LBB85_14
.LBB85_17:
	s_waitcnt lgkmcnt(0)
	ds_bpermute_b32 v5, v10, v1
	ds_bpermute_b32 v6, v10, v2
	ds_bpermute_b32 v7, v10, v3
	ds_bpermute_b32 v8, v10, v4
	s_waitcnt lgkmcnt(2)
	v_add_f64 v[0:1], v[1:2], v[5:6]
	s_waitcnt lgkmcnt(0)
	v_add_f64 v[2:3], v[3:4], v[7:8]
	ds_bpermute_b32 v4, v11, v0
	ds_bpermute_b32 v5, v11, v1
	ds_bpermute_b32 v6, v11, v2
	ds_bpermute_b32 v7, v11, v3
	s_waitcnt lgkmcnt(2)
	v_add_f64 v[0:1], v[0:1], v[4:5]
	s_waitcnt lgkmcnt(0)
	v_add_f64 v[2:3], v[2:3], v[6:7]
	;; [unrolled: 8-line block ×4, first 2 shown]
	s_or_b32 exec_lo, exec_lo, s1
	s_and_saveexec_b32 s0, vcc_lo
	s_cbranch_execz .LBB85_15
.LBB85_18:
	s_load_dwordx4 s[0:3], s[4:5], 0x48
	v_mov_b32_e32 v0, 0
	s_waitcnt lgkmcnt(0)
	s_mul_i32 s3, s3, s12
	s_mul_hi_u32 s4, s2, s12
	s_mul_i32 s2, s2, s12
	s_add_i32 s3, s4, s3
	s_lshl_b64 s[2:3], s[2:3], 4
	s_add_u32 s2, s0, s2
	s_addc_u32 s3, s1, s3
	s_lshl_b64 s[0:1], s[6:7], 4
	s_add_u32 s0, s2, s0
	s_addc_u32 s1, s3, s1
	global_store_dwordx4 v0, v[1:4], s[0:1]
	s_endpgm
	.section	.rodata,"a",@progbits
	.p2align	6, 0x0
	.amdhsa_kernel _ZL20rocblas_trmvt_kernelILi512ELb0ELb0ELb1EPKPK19rocblas_complex_numIdEPKPS1_S6_EviT3_lllT4_lllT5_li
		.amdhsa_group_segment_fixed_size 512
		.amdhsa_private_segment_fixed_size 0
		.amdhsa_kernarg_size 92
		.amdhsa_user_sgpr_count 6
		.amdhsa_user_sgpr_private_segment_buffer 1
		.amdhsa_user_sgpr_dispatch_ptr 0
		.amdhsa_user_sgpr_queue_ptr 0
		.amdhsa_user_sgpr_kernarg_segment_ptr 1
		.amdhsa_user_sgpr_dispatch_id 0
		.amdhsa_user_sgpr_flat_scratch_init 0
		.amdhsa_user_sgpr_private_segment_size 0
		.amdhsa_wavefront_size32 1
		.amdhsa_uses_dynamic_stack 0
		.amdhsa_system_sgpr_private_segment_wavefront_offset 0
		.amdhsa_system_sgpr_workgroup_id_x 1
		.amdhsa_system_sgpr_workgroup_id_y 0
		.amdhsa_system_sgpr_workgroup_id_z 1
		.amdhsa_system_sgpr_workgroup_info 0
		.amdhsa_system_vgpr_workitem_id 0
		.amdhsa_next_free_vgpr 20
		.amdhsa_next_free_sgpr 22
		.amdhsa_reserve_vcc 1
		.amdhsa_reserve_flat_scratch 0
		.amdhsa_float_round_mode_32 0
		.amdhsa_float_round_mode_16_64 0
		.amdhsa_float_denorm_mode_32 3
		.amdhsa_float_denorm_mode_16_64 3
		.amdhsa_dx10_clamp 1
		.amdhsa_ieee_mode 1
		.amdhsa_fp16_overflow 0
		.amdhsa_workgroup_processor_mode 1
		.amdhsa_memory_ordered 1
		.amdhsa_forward_progress 1
		.amdhsa_shared_vgpr_count 0
		.amdhsa_exception_fp_ieee_invalid_op 0
		.amdhsa_exception_fp_denorm_src 0
		.amdhsa_exception_fp_ieee_div_zero 0
		.amdhsa_exception_fp_ieee_overflow 0
		.amdhsa_exception_fp_ieee_underflow 0
		.amdhsa_exception_fp_ieee_inexact 0
		.amdhsa_exception_int_div_zero 0
	.end_amdhsa_kernel
	.section	.text._ZL20rocblas_trmvt_kernelILi512ELb0ELb0ELb1EPKPK19rocblas_complex_numIdEPKPS1_S6_EviT3_lllT4_lllT5_li,"axG",@progbits,_ZL20rocblas_trmvt_kernelILi512ELb0ELb0ELb1EPKPK19rocblas_complex_numIdEPKPS1_S6_EviT3_lllT4_lllT5_li,comdat
.Lfunc_end85:
	.size	_ZL20rocblas_trmvt_kernelILi512ELb0ELb0ELb1EPKPK19rocblas_complex_numIdEPKPS1_S6_EviT3_lllT4_lllT5_li, .Lfunc_end85-_ZL20rocblas_trmvt_kernelILi512ELb0ELb0ELb1EPKPK19rocblas_complex_numIdEPKPS1_S6_EviT3_lllT4_lllT5_li
                                        ; -- End function
	.set _ZL20rocblas_trmvt_kernelILi512ELb0ELb0ELb1EPKPK19rocblas_complex_numIdEPKPS1_S6_EviT3_lllT4_lllT5_li.num_vgpr, 20
	.set _ZL20rocblas_trmvt_kernelILi512ELb0ELb0ELb1EPKPK19rocblas_complex_numIdEPKPS1_S6_EviT3_lllT4_lllT5_li.num_agpr, 0
	.set _ZL20rocblas_trmvt_kernelILi512ELb0ELb0ELb1EPKPK19rocblas_complex_numIdEPKPS1_S6_EviT3_lllT4_lllT5_li.numbered_sgpr, 22
	.set _ZL20rocblas_trmvt_kernelILi512ELb0ELb0ELb1EPKPK19rocblas_complex_numIdEPKPS1_S6_EviT3_lllT4_lllT5_li.num_named_barrier, 0
	.set _ZL20rocblas_trmvt_kernelILi512ELb0ELb0ELb1EPKPK19rocblas_complex_numIdEPKPS1_S6_EviT3_lllT4_lllT5_li.private_seg_size, 0
	.set _ZL20rocblas_trmvt_kernelILi512ELb0ELb0ELb1EPKPK19rocblas_complex_numIdEPKPS1_S6_EviT3_lllT4_lllT5_li.uses_vcc, 1
	.set _ZL20rocblas_trmvt_kernelILi512ELb0ELb0ELb1EPKPK19rocblas_complex_numIdEPKPS1_S6_EviT3_lllT4_lllT5_li.uses_flat_scratch, 0
	.set _ZL20rocblas_trmvt_kernelILi512ELb0ELb0ELb1EPKPK19rocblas_complex_numIdEPKPS1_S6_EviT3_lllT4_lllT5_li.has_dyn_sized_stack, 0
	.set _ZL20rocblas_trmvt_kernelILi512ELb0ELb0ELb1EPKPK19rocblas_complex_numIdEPKPS1_S6_EviT3_lllT4_lllT5_li.has_recursion, 0
	.set _ZL20rocblas_trmvt_kernelILi512ELb0ELb0ELb1EPKPK19rocblas_complex_numIdEPKPS1_S6_EviT3_lllT4_lllT5_li.has_indirect_call, 0
	.section	.AMDGPU.csdata,"",@progbits
; Kernel info:
; codeLenInByte = 1504
; TotalNumSgprs: 24
; NumVgprs: 20
; ScratchSize: 0
; MemoryBound: 1
; FloatMode: 240
; IeeeMode: 1
; LDSByteSize: 512 bytes/workgroup (compile time only)
; SGPRBlocks: 0
; VGPRBlocks: 2
; NumSGPRsForWavesPerEU: 24
; NumVGPRsForWavesPerEU: 20
; Occupancy: 16
; WaveLimiterHint : 1
; COMPUTE_PGM_RSRC2:SCRATCH_EN: 0
; COMPUTE_PGM_RSRC2:USER_SGPR: 6
; COMPUTE_PGM_RSRC2:TRAP_HANDLER: 0
; COMPUTE_PGM_RSRC2:TGID_X_EN: 1
; COMPUTE_PGM_RSRC2:TGID_Y_EN: 0
; COMPUTE_PGM_RSRC2:TGID_Z_EN: 1
; COMPUTE_PGM_RSRC2:TIDIG_COMP_CNT: 0
	.section	.text._ZL20rocblas_trmvt_kernelILi512ELb0ELb1ELb1EPKPK19rocblas_complex_numIdEPKPS1_S6_EviT3_lllT4_lllT5_li,"axG",@progbits,_ZL20rocblas_trmvt_kernelILi512ELb0ELb1ELb1EPKPK19rocblas_complex_numIdEPKPS1_S6_EviT3_lllT4_lllT5_li,comdat
	.globl	_ZL20rocblas_trmvt_kernelILi512ELb0ELb1ELb1EPKPK19rocblas_complex_numIdEPKPS1_S6_EviT3_lllT4_lllT5_li ; -- Begin function _ZL20rocblas_trmvt_kernelILi512ELb0ELb1ELb1EPKPK19rocblas_complex_numIdEPKPS1_S6_EviT3_lllT4_lllT5_li
	.p2align	8
	.type	_ZL20rocblas_trmvt_kernelILi512ELb0ELb1ELb1EPKPK19rocblas_complex_numIdEPKPS1_S6_EviT3_lllT4_lllT5_li,@function
_ZL20rocblas_trmvt_kernelILi512ELb0ELb1ELb1EPKPK19rocblas_complex_numIdEPKPS1_S6_EviT3_lllT4_lllT5_li: ; @_ZL20rocblas_trmvt_kernelILi512ELb0ELb1ELb1EPKPK19rocblas_complex_numIdEPKPS1_S6_EviT3_lllT4_lllT5_li
; %bb.0:
	s_clause 0x1
	s_load_dwordx4 s[8:11], s[4:5], 0x8
	s_load_dwordx4 s[0:3], s[4:5], 0x28
	s_mov_b32 s12, s7
	s_mov_b32 s13, 0
	v_mov_b32_e32 v3, 0
	s_lshl_b64 s[14:15], s[12:13], 3
	v_mov_b32_e32 v1, 0
	v_mov_b32_e32 v4, 0
	;; [unrolled: 1-line block ×3, first 2 shown]
	v_cmp_eq_u32_e32 vcc_lo, 0, v0
	s_waitcnt lgkmcnt(0)
	s_add_u32 s16, s8, s14
	s_addc_u32 s17, s9, s15
	s_add_u32 s0, s0, s14
	s_addc_u32 s1, s1, s15
	s_load_dwordx2 s[8:9], s[4:5], 0x38
	s_load_dwordx2 s[14:15], s[0:1], 0x0
	s_ashr_i32 s7, s6, 31
	s_and_saveexec_b32 s0, vcc_lo
	s_cbranch_execz .LBB86_2
; %bb.1:
	s_lshl_b64 s[18:19], s[2:3], 4
	s_waitcnt lgkmcnt(0)
	s_mul_i32 s1, s8, s7
	s_add_u32 s13, s14, s18
	s_mul_hi_u32 s18, s8, s6
	s_addc_u32 s20, s15, s19
	s_add_i32 s1, s18, s1
	s_mul_i32 s18, s9, s6
	s_add_i32 s19, s1, s18
	s_mul_i32 s18, s8, s6
	s_lshl_b64 s[18:19], s[18:19], 4
	s_add_u32 s18, s13, s18
	s_addc_u32 s19, s20, s19
	v_mov_b32_e32 v1, s18
	v_mov_b32_e32 v2, s19
	flat_load_dwordx4 v[3:6], v[1:2]
	s_waitcnt vmcnt(0) lgkmcnt(0)
	v_add_f64 v[3:4], v[3:4], 0
	v_add_f64 v[1:2], v[5:6], 0
.LBB86_2:
	s_or_b32 exec_lo, exec_lo, s0
	s_load_dword s18, s[4:5], 0x0
	s_waitcnt lgkmcnt(0)
	v_cmp_gt_i32_e64 s0, s18, v0
	s_and_saveexec_b32 s13, s0
	s_cbranch_execz .LBB86_8
; %bb.3:
	s_load_dwordx2 s[16:17], s[16:17], 0x0
	s_load_dwordx2 s[20:21], s[4:5], 0x18
	v_mad_u64_u32 v[5:6], null, s8, v0, 0
	v_cndmask_b32_e64 v8, 0, v0, s0
	s_lshl_b64 s[0:1], s[10:11], 4
	v_mad_u64_u32 v[6:7], null, s9, v0, v[6:7]
	v_lshlrev_b32_e32 v7, 4, v8
	s_waitcnt lgkmcnt(0)
	s_add_u32 s10, s16, s0
	s_mul_i32 s11, s20, s7
	s_mul_hi_u32 s16, s20, s6
	s_mul_i32 s19, s21, s6
	s_addc_u32 s17, s17, s1
	s_add_i32 s1, s16, s11
	v_add_co_u32 v9, s10, s10, v7
	s_mul_i32 s0, s20, s6
	s_add_i32 s1, s1, s19
	v_add_co_ci_u32_e64 v10, null, s17, 0, s10
	s_lshl_b64 s[0:1], s[0:1], 4
	v_lshlrev_b64 v[7:8], 4, v[5:6]
	s_lshl_b64 s[2:3], s[2:3], 4
	v_add_co_u32 v5, s0, v9, s0
	v_add_co_ci_u32_e64 v6, null, s1, v10, s0
	s_add_u32 s0, s14, s2
	s_addc_u32 s1, s15, s3
	v_add_co_u32 v7, s0, s0, v7
	v_add_co_ci_u32_e64 v8, null, s1, v8, s0
	v_mov_b32_e32 v9, v0
	s_mov_b32 s10, 0
	s_lshl_b64 s[2:3], s[8:9], 13
	s_inst_prefetch 0x1
	s_branch .LBB86_5
	.p2align	6
.LBB86_4:                               ;   in Loop: Header=BB86_5 Depth=1
	s_or_b32 exec_lo, exec_lo, s1
	v_add_nc_u32_e32 v9, 0x200, v9
	v_add_co_u32 v7, s0, v7, s2
	v_add_co_ci_u32_e64 v8, null, s3, v8, s0
	v_cmp_le_i32_e64 s0, s18, v9
	v_add_co_u32 v5, s1, 0x2000, v5
	v_add_co_ci_u32_e64 v6, null, 0, v6, s1
	s_or_b32 s10, s0, s10
	s_andn2_b32 exec_lo, exec_lo, s10
	s_cbranch_execz .LBB86_7
.LBB86_5:                               ; =>This Inner Loop Header: Depth=1
	s_mov_b32 s1, exec_lo
	v_cmpx_gt_i32_e64 s6, v9
	s_cbranch_execz .LBB86_4
; %bb.6:                                ;   in Loop: Header=BB86_5 Depth=1
	flat_load_dwordx4 v[10:13], v[5:6]
	flat_load_dwordx4 v[14:17], v[7:8]
	s_waitcnt vmcnt(0) lgkmcnt(0)
	v_mul_f64 v[18:19], v[12:13], v[16:17]
	v_mul_f64 v[12:13], v[12:13], v[14:15]
	v_fma_f64 v[14:15], v[10:11], v[14:15], v[18:19]
	v_fma_f64 v[10:11], v[10:11], v[16:17], -v[12:13]
	v_add_f64 v[3:4], v[3:4], v[14:15]
	v_add_f64 v[1:2], v[1:2], v[10:11]
	s_branch .LBB86_4
.LBB86_7:
	s_inst_prefetch 0x2
	s_or_b32 exec_lo, exec_lo, s10
.LBB86_8:
	s_or_b32 exec_lo, exec_lo, s13
	v_and_b32_e32 v14, 31, v0
	v_cmp_gt_u32_e64 s0, 32, v0
	v_lshlrev_b32_e32 v9, 4, v14
	s_and_saveexec_b32 s1, s0
	s_cbranch_execz .LBB86_10
; %bb.9:
	v_mov_b32_e32 v5, 0
	v_mov_b32_e32 v6, v5
	;; [unrolled: 1-line block ×4, first 2 shown]
	ds_write_b128 v9, v[5:8]
.LBB86_10:
	s_or_b32 exec_lo, exec_lo, s1
	v_mbcnt_lo_u32_b32 v13, -1, 0
	s_mov_b32 s2, exec_lo
	s_waitcnt lgkmcnt(0)
	s_barrier
	buffer_gl0_inv
	v_lshl_or_b32 v8, v13, 2, 64
	v_cmp_gt_u32_e64 s1, 24, v13
	ds_bpermute_b32 v5, v8, v3
	ds_bpermute_b32 v6, v8, v4
	ds_bpermute_b32 v7, v8, v1
	ds_bpermute_b32 v8, v8, v2
	s_waitcnt lgkmcnt(2)
	v_add_f64 v[3:4], v[3:4], v[5:6]
	v_cndmask_b32_e64 v5, 0, 8, s1
	s_waitcnt lgkmcnt(0)
	v_add_f64 v[1:2], v[1:2], v[7:8]
	v_cmp_gt_u32_e64 s1, 28, v13
	v_add_lshl_u32 v10, v5, v13, 2
	ds_bpermute_b32 v5, v10, v3
	ds_bpermute_b32 v6, v10, v4
	;; [unrolled: 1-line block ×4, first 2 shown]
	s_waitcnt lgkmcnt(2)
	v_add_f64 v[3:4], v[3:4], v[5:6]
	v_cndmask_b32_e64 v5, 0, 4, s1
	s_waitcnt lgkmcnt(0)
	v_add_f64 v[1:2], v[1:2], v[7:8]
	v_cmp_gt_u32_e64 s1, 30, v13
	v_add_lshl_u32 v11, v5, v13, 2
	ds_bpermute_b32 v5, v11, v3
	ds_bpermute_b32 v6, v11, v4
	;; [unrolled: 1-line block ×4, first 2 shown]
	s_waitcnt lgkmcnt(2)
	v_add_f64 v[3:4], v[3:4], v[5:6]
	s_waitcnt lgkmcnt(0)
	v_add_f64 v[5:6], v[1:2], v[7:8]
	v_cndmask_b32_e64 v1, 0, 2, s1
	v_cmp_ne_u32_e64 s1, 31, v13
	v_add_lshl_u32 v12, v1, v13, 2
	ds_bpermute_b32 v1, v12, v3
	ds_bpermute_b32 v2, v12, v4
	ds_bpermute_b32 v7, v12, v5
	ds_bpermute_b32 v8, v12, v6
	s_waitcnt lgkmcnt(2)
	v_add_f64 v[1:2], v[3:4], v[1:2]
	s_waitcnt lgkmcnt(0)
	v_add_f64 v[3:4], v[5:6], v[7:8]
	v_add_co_ci_u32_e64 v5, null, 0, v13, s1
	v_lshlrev_b32_e32 v13, 2, v5
	ds_bpermute_b32 v5, v13, v1
	ds_bpermute_b32 v6, v13, v2
	;; [unrolled: 1-line block ×4, first 2 shown]
	v_cmpx_eq_u32_e32 0, v14
	s_cbranch_execz .LBB86_12
; %bb.11:
	s_waitcnt lgkmcnt(0)
	v_add_f64 v[3:4], v[3:4], v[7:8]
	v_add_f64 v[1:2], v[1:2], v[5:6]
	v_lshrrev_b32_e32 v5, 1, v0
	v_and_b32_e32 v5, 0xf0, v5
	ds_write_b128 v5, v[1:4]
.LBB86_12:
	s_or_b32 exec_lo, exec_lo, s2
	v_mov_b32_e32 v3, 0
	v_mov_b32_e32 v1, 0
	;; [unrolled: 1-line block ×4, first 2 shown]
	s_mov_b32 s2, exec_lo
	s_waitcnt lgkmcnt(0)
	s_barrier
	buffer_gl0_inv
	v_cmpx_gt_u32_e32 16, v0
	s_cbranch_execnz .LBB86_16
; %bb.13:
	s_or_b32 exec_lo, exec_lo, s2
	s_and_saveexec_b32 s1, s0
	s_cbranch_execnz .LBB86_17
.LBB86_14:
	s_or_b32 exec_lo, exec_lo, s1
	s_and_saveexec_b32 s0, vcc_lo
	s_cbranch_execnz .LBB86_18
.LBB86_15:
	s_endpgm
.LBB86_16:
	ds_read_b128 v[1:4], v9
	s_or_b32 exec_lo, exec_lo, s2
	s_and_saveexec_b32 s1, s0
	s_cbranch_execz .LBB86_14
.LBB86_17:
	s_waitcnt lgkmcnt(0)
	ds_bpermute_b32 v5, v10, v1
	ds_bpermute_b32 v6, v10, v2
	ds_bpermute_b32 v7, v10, v3
	ds_bpermute_b32 v8, v10, v4
	s_waitcnt lgkmcnt(2)
	v_add_f64 v[0:1], v[1:2], v[5:6]
	s_waitcnt lgkmcnt(0)
	v_add_f64 v[2:3], v[3:4], v[7:8]
	ds_bpermute_b32 v4, v11, v0
	ds_bpermute_b32 v5, v11, v1
	ds_bpermute_b32 v6, v11, v2
	ds_bpermute_b32 v7, v11, v3
	s_waitcnt lgkmcnt(2)
	v_add_f64 v[0:1], v[0:1], v[4:5]
	s_waitcnt lgkmcnt(0)
	v_add_f64 v[2:3], v[2:3], v[6:7]
	;; [unrolled: 8-line block ×4, first 2 shown]
	s_or_b32 exec_lo, exec_lo, s1
	s_and_saveexec_b32 s0, vcc_lo
	s_cbranch_execz .LBB86_15
.LBB86_18:
	s_load_dwordx4 s[0:3], s[4:5], 0x48
	v_mov_b32_e32 v0, 0
	s_waitcnt lgkmcnt(0)
	s_mul_i32 s3, s3, s12
	s_mul_hi_u32 s4, s2, s12
	s_mul_i32 s2, s2, s12
	s_add_i32 s3, s4, s3
	s_lshl_b64 s[2:3], s[2:3], 4
	s_add_u32 s2, s0, s2
	s_addc_u32 s3, s1, s3
	s_lshl_b64 s[0:1], s[6:7], 4
	s_add_u32 s0, s2, s0
	s_addc_u32 s1, s3, s1
	global_store_dwordx4 v0, v[1:4], s[0:1]
	s_endpgm
	.section	.rodata,"a",@progbits
	.p2align	6, 0x0
	.amdhsa_kernel _ZL20rocblas_trmvt_kernelILi512ELb0ELb1ELb1EPKPK19rocblas_complex_numIdEPKPS1_S6_EviT3_lllT4_lllT5_li
		.amdhsa_group_segment_fixed_size 512
		.amdhsa_private_segment_fixed_size 0
		.amdhsa_kernarg_size 92
		.amdhsa_user_sgpr_count 6
		.amdhsa_user_sgpr_private_segment_buffer 1
		.amdhsa_user_sgpr_dispatch_ptr 0
		.amdhsa_user_sgpr_queue_ptr 0
		.amdhsa_user_sgpr_kernarg_segment_ptr 1
		.amdhsa_user_sgpr_dispatch_id 0
		.amdhsa_user_sgpr_flat_scratch_init 0
		.amdhsa_user_sgpr_private_segment_size 0
		.amdhsa_wavefront_size32 1
		.amdhsa_uses_dynamic_stack 0
		.amdhsa_system_sgpr_private_segment_wavefront_offset 0
		.amdhsa_system_sgpr_workgroup_id_x 1
		.amdhsa_system_sgpr_workgroup_id_y 0
		.amdhsa_system_sgpr_workgroup_id_z 1
		.amdhsa_system_sgpr_workgroup_info 0
		.amdhsa_system_vgpr_workitem_id 0
		.amdhsa_next_free_vgpr 20
		.amdhsa_next_free_sgpr 22
		.amdhsa_reserve_vcc 1
		.amdhsa_reserve_flat_scratch 0
		.amdhsa_float_round_mode_32 0
		.amdhsa_float_round_mode_16_64 0
		.amdhsa_float_denorm_mode_32 3
		.amdhsa_float_denorm_mode_16_64 3
		.amdhsa_dx10_clamp 1
		.amdhsa_ieee_mode 1
		.amdhsa_fp16_overflow 0
		.amdhsa_workgroup_processor_mode 1
		.amdhsa_memory_ordered 1
		.amdhsa_forward_progress 1
		.amdhsa_shared_vgpr_count 0
		.amdhsa_exception_fp_ieee_invalid_op 0
		.amdhsa_exception_fp_denorm_src 0
		.amdhsa_exception_fp_ieee_div_zero 0
		.amdhsa_exception_fp_ieee_overflow 0
		.amdhsa_exception_fp_ieee_underflow 0
		.amdhsa_exception_fp_ieee_inexact 0
		.amdhsa_exception_int_div_zero 0
	.end_amdhsa_kernel
	.section	.text._ZL20rocblas_trmvt_kernelILi512ELb0ELb1ELb1EPKPK19rocblas_complex_numIdEPKPS1_S6_EviT3_lllT4_lllT5_li,"axG",@progbits,_ZL20rocblas_trmvt_kernelILi512ELb0ELb1ELb1EPKPK19rocblas_complex_numIdEPKPS1_S6_EviT3_lllT4_lllT5_li,comdat
.Lfunc_end86:
	.size	_ZL20rocblas_trmvt_kernelILi512ELb0ELb1ELb1EPKPK19rocblas_complex_numIdEPKPS1_S6_EviT3_lllT4_lllT5_li, .Lfunc_end86-_ZL20rocblas_trmvt_kernelILi512ELb0ELb1ELb1EPKPK19rocblas_complex_numIdEPKPS1_S6_EviT3_lllT4_lllT5_li
                                        ; -- End function
	.set _ZL20rocblas_trmvt_kernelILi512ELb0ELb1ELb1EPKPK19rocblas_complex_numIdEPKPS1_S6_EviT3_lllT4_lllT5_li.num_vgpr, 20
	.set _ZL20rocblas_trmvt_kernelILi512ELb0ELb1ELb1EPKPK19rocblas_complex_numIdEPKPS1_S6_EviT3_lllT4_lllT5_li.num_agpr, 0
	.set _ZL20rocblas_trmvt_kernelILi512ELb0ELb1ELb1EPKPK19rocblas_complex_numIdEPKPS1_S6_EviT3_lllT4_lllT5_li.numbered_sgpr, 22
	.set _ZL20rocblas_trmvt_kernelILi512ELb0ELb1ELb1EPKPK19rocblas_complex_numIdEPKPS1_S6_EviT3_lllT4_lllT5_li.num_named_barrier, 0
	.set _ZL20rocblas_trmvt_kernelILi512ELb0ELb1ELb1EPKPK19rocblas_complex_numIdEPKPS1_S6_EviT3_lllT4_lllT5_li.private_seg_size, 0
	.set _ZL20rocblas_trmvt_kernelILi512ELb0ELb1ELb1EPKPK19rocblas_complex_numIdEPKPS1_S6_EviT3_lllT4_lllT5_li.uses_vcc, 1
	.set _ZL20rocblas_trmvt_kernelILi512ELb0ELb1ELb1EPKPK19rocblas_complex_numIdEPKPS1_S6_EviT3_lllT4_lllT5_li.uses_flat_scratch, 0
	.set _ZL20rocblas_trmvt_kernelILi512ELb0ELb1ELb1EPKPK19rocblas_complex_numIdEPKPS1_S6_EviT3_lllT4_lllT5_li.has_dyn_sized_stack, 0
	.set _ZL20rocblas_trmvt_kernelILi512ELb0ELb1ELb1EPKPK19rocblas_complex_numIdEPKPS1_S6_EviT3_lllT4_lllT5_li.has_recursion, 0
	.set _ZL20rocblas_trmvt_kernelILi512ELb0ELb1ELb1EPKPK19rocblas_complex_numIdEPKPS1_S6_EviT3_lllT4_lllT5_li.has_indirect_call, 0
	.section	.AMDGPU.csdata,"",@progbits
; Kernel info:
; codeLenInByte = 1504
; TotalNumSgprs: 24
; NumVgprs: 20
; ScratchSize: 0
; MemoryBound: 1
; FloatMode: 240
; IeeeMode: 1
; LDSByteSize: 512 bytes/workgroup (compile time only)
; SGPRBlocks: 0
; VGPRBlocks: 2
; NumSGPRsForWavesPerEU: 24
; NumVGPRsForWavesPerEU: 20
; Occupancy: 16
; WaveLimiterHint : 1
; COMPUTE_PGM_RSRC2:SCRATCH_EN: 0
; COMPUTE_PGM_RSRC2:USER_SGPR: 6
; COMPUTE_PGM_RSRC2:TRAP_HANDLER: 0
; COMPUTE_PGM_RSRC2:TGID_X_EN: 1
; COMPUTE_PGM_RSRC2:TGID_Y_EN: 0
; COMPUTE_PGM_RSRC2:TGID_Z_EN: 1
; COMPUTE_PGM_RSRC2:TIDIG_COMP_CNT: 0
	.section	.text._ZL20rocblas_trmvn_kernelILi64ELi16ELb0ELb0EPKPK19rocblas_complex_numIdEPKPS1_S6_EviT3_lllT4_lllT5_li,"axG",@progbits,_ZL20rocblas_trmvn_kernelILi64ELi16ELb0ELb0EPKPK19rocblas_complex_numIdEPKPS1_S6_EviT3_lllT4_lllT5_li,comdat
	.globl	_ZL20rocblas_trmvn_kernelILi64ELi16ELb0ELb0EPKPK19rocblas_complex_numIdEPKPS1_S6_EviT3_lllT4_lllT5_li ; -- Begin function _ZL20rocblas_trmvn_kernelILi64ELi16ELb0ELb0EPKPK19rocblas_complex_numIdEPKPS1_S6_EviT3_lllT4_lllT5_li
	.p2align	8
	.type	_ZL20rocblas_trmvn_kernelILi64ELi16ELb0ELb0EPKPK19rocblas_complex_numIdEPKPS1_S6_EviT3_lllT4_lllT5_li,@function
_ZL20rocblas_trmvn_kernelILi64ELi16ELb0ELb0EPKPK19rocblas_complex_numIdEPKPS1_S6_EviT3_lllT4_lllT5_li: ; @_ZL20rocblas_trmvn_kernelILi64ELi16ELb0ELb0EPKPK19rocblas_complex_numIdEPKPS1_S6_EviT3_lllT4_lllT5_li
; %bb.0:
	s_clause 0x2
	s_load_dwordx4 s[0:3], s[4:5], 0x8
	s_load_dwordx4 s[8:11], s[4:5], 0x28
	s_load_dword s20, s[4:5], 0x0
	s_mov_b32 s12, s7
	s_mov_b32 s13, 0
	s_clause 0x1
	s_load_dwordx2 s[14:15], s[4:5], 0x18
	s_load_dwordx2 s[16:17], s[4:5], 0x38
	s_lshl_b64 s[18:19], s[12:13], 3
	v_lshl_add_u32 v6, s6, 6, v0
	v_mov_b32_e32 v2, 0
	v_mov_b32_e32 v3, 0
	;; [unrolled: 1-line block ×4, first 2 shown]
	s_waitcnt lgkmcnt(0)
	s_add_u32 s0, s0, s18
	s_addc_u32 s1, s1, s19
	s_add_u32 s18, s8, s18
	s_addc_u32 s19, s9, s19
	s_load_dwordx2 s[8:9], s[0:1], 0x0
	s_load_dwordx2 s[18:19], s[18:19], 0x0
	v_cmp_eq_u32_e64 s0, 0, v1
	v_cmp_gt_i32_e32 vcc_lo, s20, v6
	s_and_b32 s0, s0, vcc_lo
	s_and_saveexec_b32 s1, s0
	s_cbranch_execz .LBB87_2
; %bb.1:
	v_ashrrev_i32_e32 v7, 31, v6
	v_mul_lo_u32 v8, s17, v6
	v_mad_u64_u32 v[2:3], null, s16, v6, 0
	v_mul_lo_u32 v10, v6, s15
	v_mul_lo_u32 v9, s16, v7
	;; [unrolled: 1-line block ×3, first 2 shown]
	v_mad_u64_u32 v[4:5], null, v6, s14, v[6:7]
	s_lshl_b64 s[6:7], s[2:3], 4
	s_waitcnt lgkmcnt(0)
	s_add_u32 s13, s8, s6
	s_addc_u32 s21, s9, s7
	v_add3_u32 v3, v3, v9, v8
	s_lshl_b64 s[6:7], s[10:11], 4
	v_add3_u32 v5, v11, v5, v10
	s_add_u32 s0, s18, s6
	s_addc_u32 s6, s19, s7
	v_lshlrev_b64 v[2:3], 4, v[2:3]
	v_lshlrev_b64 v[4:5], 4, v[4:5]
	v_add_co_u32 v2, s0, s0, v2
	v_add_co_ci_u32_e64 v3, null, s6, v3, s0
	v_add_co_u32 v7, s0, s13, v4
	v_add_co_ci_u32_e64 v8, null, s21, v5, s0
	flat_load_dwordx4 v[2:5], v[2:3]
	flat_load_dwordx4 v[7:10], v[7:8]
	s_waitcnt vmcnt(0) lgkmcnt(0)
	v_mul_f64 v[11:12], v[4:5], v[9:10]
	v_mul_f64 v[9:10], v[2:3], v[9:10]
	v_fma_f64 v[2:3], v[2:3], v[7:8], -v[11:12]
	v_fma_f64 v[4:5], v[4:5], v[7:8], v[9:10]
.LBB87_2:
	s_or_b32 exec_lo, exec_lo, s1
	s_load_dword s13, s[4:5], 0x6c
	s_mov_b32 s21, exec_lo
	v_cmpx_gt_i32_e64 s20, v1
	s_cbranch_execz .LBB87_8
; %bb.3:
	v_mad_u64_u32 v[8:9], null, s14, v1, 0
	v_mad_u64_u32 v[10:11], null, s16, v1, 0
	s_lshl_b64 s[0:1], s[10:11], 4
	s_waitcnt lgkmcnt(0)
	s_add_u32 s6, s18, s0
	s_addc_u32 s7, s19, s1
	v_mov_b32_e32 v7, v9
	s_lshl_b64 s[0:1], s[2:3], 4
	s_lshl_b64 s[2:3], s[16:17], 8
	v_mad_u64_u32 v[12:13], null, s15, v1, v[7:8]
	v_mov_b32_e32 v7, v11
	v_mov_b32_e32 v9, v12
	v_mad_u64_u32 v[11:12], null, s17, v1, v[7:8]
	v_ashrrev_i32_e32 v7, 31, v6
	v_lshlrev_b64 v[8:9], 4, v[8:9]
	v_lshlrev_b64 v[12:13], 4, v[6:7]
	v_add_co_u32 v14, s0, v8, s0
	v_add_co_ci_u32_e64 v9, null, s1, v9, s0
	v_lshlrev_b64 v[7:8], 4, v[10:11]
	v_add_co_u32 v10, s0, v14, v12
	v_add_co_ci_u32_e64 v11, null, v9, v13, s0
	v_add_co_u32 v7, s0, s6, v7
	v_add_co_ci_u32_e64 v8, null, s7, v8, s0
	;; [unrolled: 2-line block ×3, first 2 shown]
	v_mov_b32_e32 v11, v1
	s_lshl_b64 s[6:7], s[14:15], 8
	s_mov_b32 s8, 0
	s_inst_prefetch 0x1
	s_branch .LBB87_5
	.p2align	6
.LBB87_4:                               ;   in Loop: Header=BB87_5 Depth=1
	s_or_b32 exec_lo, exec_lo, s1
	v_add_nc_u32_e32 v11, 16, v11
	v_add_co_u32 v7, s0, v7, s2
	v_add_co_ci_u32_e64 v8, null, s3, v8, s0
	v_cmp_le_i32_e64 s0, s20, v11
	v_add_co_u32 v9, s1, v9, s6
	v_add_co_ci_u32_e64 v10, null, s7, v10, s1
	s_or_b32 s8, s0, s8
	s_andn2_b32 exec_lo, exec_lo, s8
	s_cbranch_execz .LBB87_7
.LBB87_5:                               ; =>This Inner Loop Header: Depth=1
	s_mov_b32 s1, exec_lo
	v_cmpx_gt_i32_e64 v11, v6
	s_cbranch_execz .LBB87_4
; %bb.6:                                ;   in Loop: Header=BB87_5 Depth=1
	flat_load_dwordx4 v[12:15], v[7:8]
	flat_load_dwordx4 v[16:19], v[9:10]
	s_waitcnt vmcnt(0) lgkmcnt(0)
	v_mul_f64 v[20:21], v[14:15], v[18:19]
	v_mul_f64 v[18:19], v[12:13], v[18:19]
	v_fma_f64 v[12:13], v[12:13], v[16:17], -v[20:21]
	v_fma_f64 v[14:15], v[14:15], v[16:17], v[18:19]
	v_add_f64 v[2:3], v[2:3], v[12:13]
	v_add_f64 v[4:5], v[4:5], v[14:15]
	s_branch .LBB87_4
.LBB87_7:
	s_inst_prefetch 0x2
	s_or_b32 exec_lo, exec_lo, s8
.LBB87_8:
	s_or_b32 exec_lo, exec_lo, s21
	v_lshlrev_b32_e32 v7, 4, v0
	s_waitcnt lgkmcnt(0)
	s_and_b32 s1, 0xffff, s13
	s_mov_b32 s2, exec_lo
	v_mad_u32_u24 v0, v1, s1, v0
	v_lshl_add_u32 v8, v1, 10, v7
	ds_write_b128 v8, v[2:5]
	s_waitcnt lgkmcnt(0)
	s_barrier
	buffer_gl0_inv
	v_cmpx_gt_u32_e32 64, v0
	s_cbranch_execz .LBB87_11
; %bb.9:
	v_mul_u32_u24_e32 v0, s1, v1
	v_lshl_add_u32 v0, v0, 4, v7
	ds_read_b128 v[1:4], v0
	ds_read_b128 v[7:10], v0 offset:1024
	s_waitcnt lgkmcnt(0)
	v_add_f64 v[11:12], v[1:2], v[7:8]
	v_add_f64 v[13:14], v[3:4], v[9:10]
	ds_read_b128 v[1:4], v0 offset:2048
	ds_read_b128 v[7:10], v0 offset:3072
	s_waitcnt lgkmcnt(1)
	v_add_f64 v[1:2], v[11:12], v[1:2]
	v_add_f64 v[3:4], v[13:14], v[3:4]
	s_waitcnt lgkmcnt(0)
	v_add_f64 v[11:12], v[1:2], v[7:8]
	v_add_f64 v[13:14], v[3:4], v[9:10]
	ds_read_b128 v[1:4], v0 offset:4096
	ds_read_b128 v[7:10], v0 offset:5120
	s_waitcnt lgkmcnt(1)
	v_add_f64 v[1:2], v[11:12], v[1:2]
	v_add_f64 v[3:4], v[13:14], v[3:4]
	;; [unrolled: 8-line block ×7, first 2 shown]
	s_waitcnt lgkmcnt(0)
	v_add_f64 v[1:2], v[1:2], v[7:8]
	v_add_f64 v[3:4], v[3:4], v[9:10]
	ds_write_b128 v0, v[1:4]
	s_and_b32 exec_lo, exec_lo, vcc_lo
	s_cbranch_execz .LBB87_11
; %bb.10:
	s_load_dwordx4 s[0:3], s[4:5], 0x48
	ds_read2_b64 v[0:3], v0 offset1:1
	v_ashrrev_i32_e32 v7, 31, v6
	v_lshlrev_b64 v[4:5], 4, v[6:7]
	s_waitcnt lgkmcnt(0)
	s_mul_i32 s3, s3, s12
	s_mul_hi_u32 s4, s2, s12
	s_mul_i32 s2, s2, s12
	s_add_i32 s3, s4, s3
	s_lshl_b64 s[2:3], s[2:3], 4
	s_add_u32 s0, s0, s2
	s_addc_u32 s1, s1, s3
	v_add_co_u32 v4, vcc_lo, s0, v4
	v_add_co_ci_u32_e64 v5, null, s1, v5, vcc_lo
	global_store_dwordx4 v[4:5], v[0:3], off
.LBB87_11:
	s_endpgm
	.section	.rodata,"a",@progbits
	.p2align	6, 0x0
	.amdhsa_kernel _ZL20rocblas_trmvn_kernelILi64ELi16ELb0ELb0EPKPK19rocblas_complex_numIdEPKPS1_S6_EviT3_lllT4_lllT5_li
		.amdhsa_group_segment_fixed_size 16384
		.amdhsa_private_segment_fixed_size 0
		.amdhsa_kernarg_size 352
		.amdhsa_user_sgpr_count 6
		.amdhsa_user_sgpr_private_segment_buffer 1
		.amdhsa_user_sgpr_dispatch_ptr 0
		.amdhsa_user_sgpr_queue_ptr 0
		.amdhsa_user_sgpr_kernarg_segment_ptr 1
		.amdhsa_user_sgpr_dispatch_id 0
		.amdhsa_user_sgpr_flat_scratch_init 0
		.amdhsa_user_sgpr_private_segment_size 0
		.amdhsa_wavefront_size32 1
		.amdhsa_uses_dynamic_stack 0
		.amdhsa_system_sgpr_private_segment_wavefront_offset 0
		.amdhsa_system_sgpr_workgroup_id_x 1
		.amdhsa_system_sgpr_workgroup_id_y 0
		.amdhsa_system_sgpr_workgroup_id_z 1
		.amdhsa_system_sgpr_workgroup_info 0
		.amdhsa_system_vgpr_workitem_id 1
		.amdhsa_next_free_vgpr 22
		.amdhsa_next_free_sgpr 22
		.amdhsa_reserve_vcc 1
		.amdhsa_reserve_flat_scratch 0
		.amdhsa_float_round_mode_32 0
		.amdhsa_float_round_mode_16_64 0
		.amdhsa_float_denorm_mode_32 3
		.amdhsa_float_denorm_mode_16_64 3
		.amdhsa_dx10_clamp 1
		.amdhsa_ieee_mode 1
		.amdhsa_fp16_overflow 0
		.amdhsa_workgroup_processor_mode 1
		.amdhsa_memory_ordered 1
		.amdhsa_forward_progress 1
		.amdhsa_shared_vgpr_count 0
		.amdhsa_exception_fp_ieee_invalid_op 0
		.amdhsa_exception_fp_denorm_src 0
		.amdhsa_exception_fp_ieee_div_zero 0
		.amdhsa_exception_fp_ieee_overflow 0
		.amdhsa_exception_fp_ieee_underflow 0
		.amdhsa_exception_fp_ieee_inexact 0
		.amdhsa_exception_int_div_zero 0
	.end_amdhsa_kernel
	.section	.text._ZL20rocblas_trmvn_kernelILi64ELi16ELb0ELb0EPKPK19rocblas_complex_numIdEPKPS1_S6_EviT3_lllT4_lllT5_li,"axG",@progbits,_ZL20rocblas_trmvn_kernelILi64ELi16ELb0ELb0EPKPK19rocblas_complex_numIdEPKPS1_S6_EviT3_lllT4_lllT5_li,comdat
.Lfunc_end87:
	.size	_ZL20rocblas_trmvn_kernelILi64ELi16ELb0ELb0EPKPK19rocblas_complex_numIdEPKPS1_S6_EviT3_lllT4_lllT5_li, .Lfunc_end87-_ZL20rocblas_trmvn_kernelILi64ELi16ELb0ELb0EPKPK19rocblas_complex_numIdEPKPS1_S6_EviT3_lllT4_lllT5_li
                                        ; -- End function
	.set _ZL20rocblas_trmvn_kernelILi64ELi16ELb0ELb0EPKPK19rocblas_complex_numIdEPKPS1_S6_EviT3_lllT4_lllT5_li.num_vgpr, 22
	.set _ZL20rocblas_trmvn_kernelILi64ELi16ELb0ELb0EPKPK19rocblas_complex_numIdEPKPS1_S6_EviT3_lllT4_lllT5_li.num_agpr, 0
	.set _ZL20rocblas_trmvn_kernelILi64ELi16ELb0ELb0EPKPK19rocblas_complex_numIdEPKPS1_S6_EviT3_lllT4_lllT5_li.numbered_sgpr, 22
	.set _ZL20rocblas_trmvn_kernelILi64ELi16ELb0ELb0EPKPK19rocblas_complex_numIdEPKPS1_S6_EviT3_lllT4_lllT5_li.num_named_barrier, 0
	.set _ZL20rocblas_trmvn_kernelILi64ELi16ELb0ELb0EPKPK19rocblas_complex_numIdEPKPS1_S6_EviT3_lllT4_lllT5_li.private_seg_size, 0
	.set _ZL20rocblas_trmvn_kernelILi64ELi16ELb0ELb0EPKPK19rocblas_complex_numIdEPKPS1_S6_EviT3_lllT4_lllT5_li.uses_vcc, 1
	.set _ZL20rocblas_trmvn_kernelILi64ELi16ELb0ELb0EPKPK19rocblas_complex_numIdEPKPS1_S6_EviT3_lllT4_lllT5_li.uses_flat_scratch, 0
	.set _ZL20rocblas_trmvn_kernelILi64ELi16ELb0ELb0EPKPK19rocblas_complex_numIdEPKPS1_S6_EviT3_lllT4_lllT5_li.has_dyn_sized_stack, 0
	.set _ZL20rocblas_trmvn_kernelILi64ELi16ELb0ELb0EPKPK19rocblas_complex_numIdEPKPS1_S6_EviT3_lllT4_lllT5_li.has_recursion, 0
	.set _ZL20rocblas_trmvn_kernelILi64ELi16ELb0ELb0EPKPK19rocblas_complex_numIdEPKPS1_S6_EviT3_lllT4_lllT5_li.has_indirect_call, 0
	.section	.AMDGPU.csdata,"",@progbits
; Kernel info:
; codeLenInByte = 1348
; TotalNumSgprs: 24
; NumVgprs: 22
; ScratchSize: 0
; MemoryBound: 1
; FloatMode: 240
; IeeeMode: 1
; LDSByteSize: 16384 bytes/workgroup (compile time only)
; SGPRBlocks: 0
; VGPRBlocks: 2
; NumSGPRsForWavesPerEU: 24
; NumVGPRsForWavesPerEU: 22
; Occupancy: 16
; WaveLimiterHint : 1
; COMPUTE_PGM_RSRC2:SCRATCH_EN: 0
; COMPUTE_PGM_RSRC2:USER_SGPR: 6
; COMPUTE_PGM_RSRC2:TRAP_HANDLER: 0
; COMPUTE_PGM_RSRC2:TGID_X_EN: 1
; COMPUTE_PGM_RSRC2:TGID_Y_EN: 0
; COMPUTE_PGM_RSRC2:TGID_Z_EN: 1
; COMPUTE_PGM_RSRC2:TIDIG_COMP_CNT: 1
	.section	.text._ZL20rocblas_trmvt_kernelILi512ELb0ELb0ELb0EPKPK19rocblas_complex_numIdEPKPS1_S6_EviT3_lllT4_lllT5_li,"axG",@progbits,_ZL20rocblas_trmvt_kernelILi512ELb0ELb0ELb0EPKPK19rocblas_complex_numIdEPKPS1_S6_EviT3_lllT4_lllT5_li,comdat
	.globl	_ZL20rocblas_trmvt_kernelILi512ELb0ELb0ELb0EPKPK19rocblas_complex_numIdEPKPS1_S6_EviT3_lllT4_lllT5_li ; -- Begin function _ZL20rocblas_trmvt_kernelILi512ELb0ELb0ELb0EPKPK19rocblas_complex_numIdEPKPS1_S6_EviT3_lllT4_lllT5_li
	.p2align	8
	.type	_ZL20rocblas_trmvt_kernelILi512ELb0ELb0ELb0EPKPK19rocblas_complex_numIdEPKPS1_S6_EviT3_lllT4_lllT5_li,@function
_ZL20rocblas_trmvt_kernelILi512ELb0ELb0ELb0EPKPK19rocblas_complex_numIdEPKPS1_S6_EviT3_lllT4_lllT5_li: ; @_ZL20rocblas_trmvt_kernelILi512ELb0ELb0ELb0EPKPK19rocblas_complex_numIdEPKPS1_S6_EviT3_lllT4_lllT5_li
; %bb.0:
	s_clause 0x1
	s_load_dwordx4 s[16:19], s[4:5], 0x8
	s_load_dword s14, s[4:5], 0x0
	s_mov_b32 s2, s7
	s_mov_b32 s3, 0
	s_load_dwordx2 s[22:23], s[4:5], 0x18
	s_lshl_b64 s[20:21], s[2:3], 3
	v_mov_b32_e32 v5, 0
	v_mov_b32_e32 v3, 0
	;; [unrolled: 1-line block ×4, first 2 shown]
	s_waitcnt lgkmcnt(0)
	s_add_u32 s0, s16, s20
	s_addc_u32 s1, s17, s21
	s_lshl_b64 s[18:19], s[18:19], 4
	s_load_dwordx2 s[16:17], s[0:1], 0x0
	s_clause 0x1
	s_load_dwordx4 s[8:11], s[4:5], 0x28
	s_load_dwordx2 s[12:13], s[4:5], 0x38
	v_cmp_gt_i32_e64 s0, s14, v0
	s_mul_hi_u32 s1, s22, s6
	s_mul_i32 s3, s23, s6
	v_cndmask_b32_e64 v1, 0, v0, s0
	v_lshlrev_b32_e32 v1, 4, v1
	s_waitcnt lgkmcnt(0)
	s_add_u32 s15, s16, s18
	s_addc_u32 s18, s17, s19
	s_add_u32 s8, s8, s20
	s_addc_u32 s9, s9, s21
	s_ashr_i32 s7, s6, 31
	s_load_dwordx2 s[8:9], s[8:9], 0x0
	s_mul_i32 s16, s22, s7
	s_add_i32 s1, s1, s16
	s_mul_i32 s16, s22, s6
	s_add_i32 s17, s1, s3
	v_add_co_u32 v1, s1, s15, v1
	v_add_co_ci_u32_e64 v2, null, s18, 0, s1
	s_lshl_b64 s[16:17], s[16:17], 4
	v_add_co_u32 v1, vcc_lo, v1, s16
	v_add_co_ci_u32_e64 v2, null, s17, v2, vcc_lo
	v_cmp_eq_u32_e32 vcc_lo, 0, v0
	s_and_saveexec_b32 s3, vcc_lo
	s_cbranch_execz .LBB88_2
; %bb.1:
	s_lshl_b64 s[16:17], s[10:11], 4
	s_mul_i32 s1, s12, s7
	s_waitcnt lgkmcnt(0)
	s_add_u32 s15, s8, s16
	s_mul_hi_u32 s16, s12, s6
	s_addc_u32 s20, s9, s17
	s_add_i32 s1, s16, s1
	s_mul_i32 s16, s13, s6
	s_lshl_b64 s[18:19], s[6:7], 4
	s_add_i32 s17, s1, s16
	s_mul_i32 s16, s12, s6
	v_add_co_u32 v3, s1, v1, s18
	s_lshl_b64 s[16:17], s[16:17], 4
	v_add_co_ci_u32_e64 v4, null, s19, v2, s1
	s_add_u32 s16, s15, s16
	s_addc_u32 s17, s20, s17
	v_mov_b32_e32 v7, s16
	v_mov_b32_e32 v8, s17
	flat_load_dwordx4 v[3:6], v[3:4]
	flat_load_dwordx4 v[7:10], v[7:8]
	s_waitcnt vmcnt(0) lgkmcnt(0)
	v_mul_f64 v[11:12], v[5:6], v[9:10]
	v_mul_f64 v[9:10], v[3:4], v[9:10]
	v_fma_f64 v[3:4], v[3:4], v[7:8], -v[11:12]
	v_fma_f64 v[7:8], v[5:6], v[7:8], v[9:10]
	v_add_f64 v[5:6], v[3:4], 0
	v_add_f64 v[3:4], v[7:8], 0
.LBB88_2:
	s_or_b32 exec_lo, exec_lo, s3
	s_and_saveexec_b32 s3, s0
	s_cbranch_execz .LBB88_8
; %bb.3:
	v_mad_u64_u32 v[7:8], null, s12, v0, 0
	s_lshl_b64 s[0:1], s[10:11], 4
	s_mov_b32 s10, 0
	s_waitcnt lgkmcnt(0)
	s_add_u32 s0, s8, s0
	s_addc_u32 s1, s9, s1
	s_lshl_b64 s[8:9], s[12:13], 13
	v_mad_u64_u32 v[8:9], null, s13, v0, v[8:9]
	v_mov_b32_e32 v9, v0
	v_lshlrev_b64 v[7:8], 4, v[7:8]
	v_add_co_u32 v7, s0, s0, v7
	v_add_co_ci_u32_e64 v8, null, s1, v8, s0
	s_inst_prefetch 0x1
	s_branch .LBB88_5
	.p2align	6
.LBB88_4:                               ;   in Loop: Header=BB88_5 Depth=1
	s_or_b32 exec_lo, exec_lo, s1
	v_add_nc_u32_e32 v9, 0x200, v9
	v_add_co_u32 v7, s0, v7, s8
	v_add_co_ci_u32_e64 v8, null, s9, v8, s0
	v_cmp_le_i32_e64 s0, s14, v9
	v_add_co_u32 v1, s1, 0x2000, v1
	v_add_co_ci_u32_e64 v2, null, 0, v2, s1
	s_or_b32 s10, s0, s10
	s_andn2_b32 exec_lo, exec_lo, s10
	s_cbranch_execz .LBB88_7
.LBB88_5:                               ; =>This Inner Loop Header: Depth=1
	s_mov_b32 s1, exec_lo
	v_cmpx_gt_i32_e64 s6, v9
	s_cbranch_execz .LBB88_4
; %bb.6:                                ;   in Loop: Header=BB88_5 Depth=1
	flat_load_dwordx4 v[10:13], v[1:2]
	flat_load_dwordx4 v[14:17], v[7:8]
	s_waitcnt vmcnt(0) lgkmcnt(0)
	v_mul_f64 v[18:19], v[12:13], v[16:17]
	v_mul_f64 v[16:17], v[10:11], v[16:17]
	v_fma_f64 v[10:11], v[10:11], v[14:15], -v[18:19]
	v_fma_f64 v[12:13], v[12:13], v[14:15], v[16:17]
	v_add_f64 v[5:6], v[5:6], v[10:11]
	v_add_f64 v[3:4], v[3:4], v[12:13]
	s_branch .LBB88_4
.LBB88_7:
	s_inst_prefetch 0x2
	s_or_b32 exec_lo, exec_lo, s10
.LBB88_8:
	s_or_b32 exec_lo, exec_lo, s3
	v_and_b32_e32 v14, 31, v0
	v_cmp_gt_u32_e64 s0, 32, v0
	v_lshlrev_b32_e32 v9, 4, v14
	s_and_saveexec_b32 s1, s0
	s_cbranch_execz .LBB88_10
; %bb.9:
	v_mov_b32_e32 v10, 0
	v_mov_b32_e32 v11, v10
	;; [unrolled: 1-line block ×4, first 2 shown]
	ds_write_b128 v9, v[10:13]
.LBB88_10:
	s_or_b32 exec_lo, exec_lo, s1
	v_mbcnt_lo_u32_b32 v13, -1, 0
	s_mov_b32 s3, exec_lo
	s_waitcnt lgkmcnt(0)
	s_barrier
	buffer_gl0_inv
	v_lshl_or_b32 v8, v13, 2, 64
	v_cmp_gt_u32_e64 s1, 24, v13
	ds_bpermute_b32 v1, v8, v5
	ds_bpermute_b32 v2, v8, v6
	;; [unrolled: 1-line block ×4, first 2 shown]
	s_waitcnt lgkmcnt(2)
	v_add_f64 v[1:2], v[5:6], v[1:2]
	v_cndmask_b32_e64 v5, 0, 8, s1
	s_waitcnt lgkmcnt(0)
	v_add_f64 v[3:4], v[3:4], v[7:8]
	v_cmp_gt_u32_e64 s1, 28, v13
	v_add_lshl_u32 v10, v5, v13, 2
	ds_bpermute_b32 v5, v10, v1
	ds_bpermute_b32 v6, v10, v2
	;; [unrolled: 1-line block ×4, first 2 shown]
	s_waitcnt lgkmcnt(2)
	v_add_f64 v[1:2], v[1:2], v[5:6]
	v_cndmask_b32_e64 v5, 0, 4, s1
	s_waitcnt lgkmcnt(0)
	v_add_f64 v[3:4], v[3:4], v[7:8]
	v_cmp_gt_u32_e64 s1, 30, v13
	v_add_lshl_u32 v11, v5, v13, 2
	ds_bpermute_b32 v5, v11, v1
	ds_bpermute_b32 v6, v11, v2
	;; [unrolled: 1-line block ×4, first 2 shown]
	s_waitcnt lgkmcnt(2)
	v_add_f64 v[1:2], v[1:2], v[5:6]
	v_cndmask_b32_e64 v5, 0, 2, s1
	s_waitcnt lgkmcnt(0)
	v_add_f64 v[3:4], v[3:4], v[7:8]
	v_cmp_ne_u32_e64 s1, 31, v13
	v_add_lshl_u32 v12, v5, v13, 2
	ds_bpermute_b32 v5, v12, v1
	ds_bpermute_b32 v6, v12, v2
	;; [unrolled: 1-line block ×4, first 2 shown]
	s_waitcnt lgkmcnt(2)
	v_add_f64 v[1:2], v[1:2], v[5:6]
	v_add_co_ci_u32_e64 v5, null, 0, v13, s1
	s_waitcnt lgkmcnt(0)
	v_add_f64 v[3:4], v[3:4], v[7:8]
	v_lshlrev_b32_e32 v13, 2, v5
	ds_bpermute_b32 v5, v13, v1
	ds_bpermute_b32 v6, v13, v2
	;; [unrolled: 1-line block ×4, first 2 shown]
	v_cmpx_eq_u32_e32 0, v14
	s_cbranch_execz .LBB88_12
; %bb.11:
	s_waitcnt lgkmcnt(0)
	v_add_f64 v[3:4], v[3:4], v[7:8]
	v_add_f64 v[1:2], v[1:2], v[5:6]
	v_lshrrev_b32_e32 v5, 1, v0
	v_and_b32_e32 v5, 0xf0, v5
	ds_write_b128 v5, v[1:4]
.LBB88_12:
	s_or_b32 exec_lo, exec_lo, s3
	v_mov_b32_e32 v3, 0
	v_mov_b32_e32 v1, 0
	;; [unrolled: 1-line block ×4, first 2 shown]
	s_mov_b32 s3, exec_lo
	s_waitcnt lgkmcnt(0)
	s_barrier
	buffer_gl0_inv
	v_cmpx_gt_u32_e32 16, v0
	s_cbranch_execnz .LBB88_16
; %bb.13:
	s_or_b32 exec_lo, exec_lo, s3
	s_and_saveexec_b32 s1, s0
	s_cbranch_execnz .LBB88_17
.LBB88_14:
	s_or_b32 exec_lo, exec_lo, s1
	s_and_saveexec_b32 s0, vcc_lo
	s_cbranch_execnz .LBB88_18
.LBB88_15:
	s_endpgm
.LBB88_16:
	ds_read_b128 v[1:4], v9
	s_or_b32 exec_lo, exec_lo, s3
	s_and_saveexec_b32 s1, s0
	s_cbranch_execz .LBB88_14
.LBB88_17:
	s_waitcnt lgkmcnt(0)
	ds_bpermute_b32 v5, v10, v1
	ds_bpermute_b32 v6, v10, v2
	ds_bpermute_b32 v7, v10, v3
	ds_bpermute_b32 v8, v10, v4
	s_waitcnt lgkmcnt(2)
	v_add_f64 v[0:1], v[1:2], v[5:6]
	s_waitcnt lgkmcnt(0)
	v_add_f64 v[2:3], v[3:4], v[7:8]
	ds_bpermute_b32 v4, v11, v0
	ds_bpermute_b32 v5, v11, v1
	ds_bpermute_b32 v6, v11, v2
	ds_bpermute_b32 v7, v11, v3
	s_waitcnt lgkmcnt(2)
	v_add_f64 v[0:1], v[0:1], v[4:5]
	s_waitcnt lgkmcnt(0)
	v_add_f64 v[2:3], v[2:3], v[6:7]
	;; [unrolled: 8-line block ×4, first 2 shown]
	s_or_b32 exec_lo, exec_lo, s1
	s_and_saveexec_b32 s0, vcc_lo
	s_cbranch_execz .LBB88_15
.LBB88_18:
	s_load_dwordx4 s[8:11], s[4:5], 0x48
	v_mov_b32_e32 v0, 0
	s_waitcnt lgkmcnt(0)
	s_mul_i32 s1, s11, s2
	s_mul_hi_u32 s3, s10, s2
	s_mul_i32 s0, s10, s2
	s_add_i32 s1, s3, s1
	s_lshl_b64 s[0:1], s[0:1], 4
	s_add_u32 s2, s8, s0
	s_addc_u32 s3, s9, s1
	s_lshl_b64 s[0:1], s[6:7], 4
	s_add_u32 s0, s2, s0
	s_addc_u32 s1, s3, s1
	global_store_dwordx4 v0, v[1:4], s[0:1]
	s_endpgm
	.section	.rodata,"a",@progbits
	.p2align	6, 0x0
	.amdhsa_kernel _ZL20rocblas_trmvt_kernelILi512ELb0ELb0ELb0EPKPK19rocblas_complex_numIdEPKPS1_S6_EviT3_lllT4_lllT5_li
		.amdhsa_group_segment_fixed_size 512
		.amdhsa_private_segment_fixed_size 0
		.amdhsa_kernarg_size 92
		.amdhsa_user_sgpr_count 6
		.amdhsa_user_sgpr_private_segment_buffer 1
		.amdhsa_user_sgpr_dispatch_ptr 0
		.amdhsa_user_sgpr_queue_ptr 0
		.amdhsa_user_sgpr_kernarg_segment_ptr 1
		.amdhsa_user_sgpr_dispatch_id 0
		.amdhsa_user_sgpr_flat_scratch_init 0
		.amdhsa_user_sgpr_private_segment_size 0
		.amdhsa_wavefront_size32 1
		.amdhsa_uses_dynamic_stack 0
		.amdhsa_system_sgpr_private_segment_wavefront_offset 0
		.amdhsa_system_sgpr_workgroup_id_x 1
		.amdhsa_system_sgpr_workgroup_id_y 0
		.amdhsa_system_sgpr_workgroup_id_z 1
		.amdhsa_system_sgpr_workgroup_info 0
		.amdhsa_system_vgpr_workitem_id 0
		.amdhsa_next_free_vgpr 20
		.amdhsa_next_free_sgpr 24
		.amdhsa_reserve_vcc 1
		.amdhsa_reserve_flat_scratch 0
		.amdhsa_float_round_mode_32 0
		.amdhsa_float_round_mode_16_64 0
		.amdhsa_float_denorm_mode_32 3
		.amdhsa_float_denorm_mode_16_64 3
		.amdhsa_dx10_clamp 1
		.amdhsa_ieee_mode 1
		.amdhsa_fp16_overflow 0
		.amdhsa_workgroup_processor_mode 1
		.amdhsa_memory_ordered 1
		.amdhsa_forward_progress 1
		.amdhsa_shared_vgpr_count 0
		.amdhsa_exception_fp_ieee_invalid_op 0
		.amdhsa_exception_fp_denorm_src 0
		.amdhsa_exception_fp_ieee_div_zero 0
		.amdhsa_exception_fp_ieee_overflow 0
		.amdhsa_exception_fp_ieee_underflow 0
		.amdhsa_exception_fp_ieee_inexact 0
		.amdhsa_exception_int_div_zero 0
	.end_amdhsa_kernel
	.section	.text._ZL20rocblas_trmvt_kernelILi512ELb0ELb0ELb0EPKPK19rocblas_complex_numIdEPKPS1_S6_EviT3_lllT4_lllT5_li,"axG",@progbits,_ZL20rocblas_trmvt_kernelILi512ELb0ELb0ELb0EPKPK19rocblas_complex_numIdEPKPS1_S6_EviT3_lllT4_lllT5_li,comdat
.Lfunc_end88:
	.size	_ZL20rocblas_trmvt_kernelILi512ELb0ELb0ELb0EPKPK19rocblas_complex_numIdEPKPS1_S6_EviT3_lllT4_lllT5_li, .Lfunc_end88-_ZL20rocblas_trmvt_kernelILi512ELb0ELb0ELb0EPKPK19rocblas_complex_numIdEPKPS1_S6_EviT3_lllT4_lllT5_li
                                        ; -- End function
	.set _ZL20rocblas_trmvt_kernelILi512ELb0ELb0ELb0EPKPK19rocblas_complex_numIdEPKPS1_S6_EviT3_lllT4_lllT5_li.num_vgpr, 20
	.set _ZL20rocblas_trmvt_kernelILi512ELb0ELb0ELb0EPKPK19rocblas_complex_numIdEPKPS1_S6_EviT3_lllT4_lllT5_li.num_agpr, 0
	.set _ZL20rocblas_trmvt_kernelILi512ELb0ELb0ELb0EPKPK19rocblas_complex_numIdEPKPS1_S6_EviT3_lllT4_lllT5_li.numbered_sgpr, 24
	.set _ZL20rocblas_trmvt_kernelILi512ELb0ELb0ELb0EPKPK19rocblas_complex_numIdEPKPS1_S6_EviT3_lllT4_lllT5_li.num_named_barrier, 0
	.set _ZL20rocblas_trmvt_kernelILi512ELb0ELb0ELb0EPKPK19rocblas_complex_numIdEPKPS1_S6_EviT3_lllT4_lllT5_li.private_seg_size, 0
	.set _ZL20rocblas_trmvt_kernelILi512ELb0ELb0ELb0EPKPK19rocblas_complex_numIdEPKPS1_S6_EviT3_lllT4_lllT5_li.uses_vcc, 1
	.set _ZL20rocblas_trmvt_kernelILi512ELb0ELb0ELb0EPKPK19rocblas_complex_numIdEPKPS1_S6_EviT3_lllT4_lllT5_li.uses_flat_scratch, 0
	.set _ZL20rocblas_trmvt_kernelILi512ELb0ELb0ELb0EPKPK19rocblas_complex_numIdEPKPS1_S6_EviT3_lllT4_lllT5_li.has_dyn_sized_stack, 0
	.set _ZL20rocblas_trmvt_kernelILi512ELb0ELb0ELb0EPKPK19rocblas_complex_numIdEPKPS1_S6_EviT3_lllT4_lllT5_li.has_recursion, 0
	.set _ZL20rocblas_trmvt_kernelILi512ELb0ELb0ELb0EPKPK19rocblas_complex_numIdEPKPS1_S6_EviT3_lllT4_lllT5_li.has_indirect_call, 0
	.section	.AMDGPU.csdata,"",@progbits
; Kernel info:
; codeLenInByte = 1568
; TotalNumSgprs: 26
; NumVgprs: 20
; ScratchSize: 0
; MemoryBound: 1
; FloatMode: 240
; IeeeMode: 1
; LDSByteSize: 512 bytes/workgroup (compile time only)
; SGPRBlocks: 0
; VGPRBlocks: 2
; NumSGPRsForWavesPerEU: 26
; NumVGPRsForWavesPerEU: 20
; Occupancy: 16
; WaveLimiterHint : 1
; COMPUTE_PGM_RSRC2:SCRATCH_EN: 0
; COMPUTE_PGM_RSRC2:USER_SGPR: 6
; COMPUTE_PGM_RSRC2:TRAP_HANDLER: 0
; COMPUTE_PGM_RSRC2:TGID_X_EN: 1
; COMPUTE_PGM_RSRC2:TGID_Y_EN: 0
; COMPUTE_PGM_RSRC2:TGID_Z_EN: 1
; COMPUTE_PGM_RSRC2:TIDIG_COMP_CNT: 0
	.section	.text._ZL20rocblas_trmvt_kernelILi512ELb0ELb1ELb0EPKPK19rocblas_complex_numIdEPKPS1_S6_EviT3_lllT4_lllT5_li,"axG",@progbits,_ZL20rocblas_trmvt_kernelILi512ELb0ELb1ELb0EPKPK19rocblas_complex_numIdEPKPS1_S6_EviT3_lllT4_lllT5_li,comdat
	.globl	_ZL20rocblas_trmvt_kernelILi512ELb0ELb1ELb0EPKPK19rocblas_complex_numIdEPKPS1_S6_EviT3_lllT4_lllT5_li ; -- Begin function _ZL20rocblas_trmvt_kernelILi512ELb0ELb1ELb0EPKPK19rocblas_complex_numIdEPKPS1_S6_EviT3_lllT4_lllT5_li
	.p2align	8
	.type	_ZL20rocblas_trmvt_kernelILi512ELb0ELb1ELb0EPKPK19rocblas_complex_numIdEPKPS1_S6_EviT3_lllT4_lllT5_li,@function
_ZL20rocblas_trmvt_kernelILi512ELb0ELb1ELb0EPKPK19rocblas_complex_numIdEPKPS1_S6_EviT3_lllT4_lllT5_li: ; @_ZL20rocblas_trmvt_kernelILi512ELb0ELb1ELb0EPKPK19rocblas_complex_numIdEPKPS1_S6_EviT3_lllT4_lllT5_li
; %bb.0:
	s_clause 0x1
	s_load_dwordx4 s[16:19], s[4:5], 0x8
	s_load_dword s14, s[4:5], 0x0
	s_mov_b32 s2, s7
	s_mov_b32 s3, 0
	s_load_dwordx2 s[22:23], s[4:5], 0x18
	s_lshl_b64 s[20:21], s[2:3], 3
	v_mov_b32_e32 v5, 0
	v_mov_b32_e32 v3, 0
	;; [unrolled: 1-line block ×4, first 2 shown]
	s_waitcnt lgkmcnt(0)
	s_add_u32 s0, s16, s20
	s_addc_u32 s1, s17, s21
	s_lshl_b64 s[18:19], s[18:19], 4
	s_load_dwordx2 s[16:17], s[0:1], 0x0
	s_clause 0x1
	s_load_dwordx4 s[8:11], s[4:5], 0x28
	s_load_dwordx2 s[12:13], s[4:5], 0x38
	v_cmp_gt_i32_e64 s0, s14, v0
	s_mul_hi_u32 s1, s22, s6
	s_mul_i32 s3, s23, s6
	v_cndmask_b32_e64 v1, 0, v0, s0
	v_lshlrev_b32_e32 v1, 4, v1
	s_waitcnt lgkmcnt(0)
	s_add_u32 s15, s16, s18
	s_addc_u32 s18, s17, s19
	s_add_u32 s8, s8, s20
	s_addc_u32 s9, s9, s21
	s_ashr_i32 s7, s6, 31
	s_load_dwordx2 s[8:9], s[8:9], 0x0
	s_mul_i32 s16, s22, s7
	s_add_i32 s1, s1, s16
	s_mul_i32 s16, s22, s6
	s_add_i32 s17, s1, s3
	v_add_co_u32 v1, s1, s15, v1
	v_add_co_ci_u32_e64 v2, null, s18, 0, s1
	s_lshl_b64 s[16:17], s[16:17], 4
	v_add_co_u32 v1, vcc_lo, v1, s16
	v_add_co_ci_u32_e64 v2, null, s17, v2, vcc_lo
	v_cmp_eq_u32_e32 vcc_lo, 0, v0
	s_and_saveexec_b32 s3, vcc_lo
	s_cbranch_execz .LBB89_2
; %bb.1:
	s_lshl_b64 s[16:17], s[10:11], 4
	s_mul_i32 s1, s12, s7
	s_waitcnt lgkmcnt(0)
	s_add_u32 s15, s8, s16
	s_mul_hi_u32 s16, s12, s6
	s_addc_u32 s20, s9, s17
	s_add_i32 s1, s16, s1
	s_mul_i32 s16, s13, s6
	s_lshl_b64 s[18:19], s[6:7], 4
	s_add_i32 s17, s1, s16
	s_mul_i32 s16, s12, s6
	v_add_co_u32 v3, s1, v1, s18
	s_lshl_b64 s[16:17], s[16:17], 4
	v_add_co_ci_u32_e64 v4, null, s19, v2, s1
	s_add_u32 s16, s15, s16
	s_addc_u32 s17, s20, s17
	v_mov_b32_e32 v7, s16
	v_mov_b32_e32 v8, s17
	flat_load_dwordx4 v[3:6], v[3:4]
	flat_load_dwordx4 v[7:10], v[7:8]
	s_waitcnt vmcnt(0) lgkmcnt(0)
	v_mul_f64 v[11:12], v[5:6], v[9:10]
	v_mul_f64 v[5:6], v[5:6], v[7:8]
	v_fma_f64 v[7:8], v[3:4], v[7:8], v[11:12]
	v_fma_f64 v[3:4], v[3:4], v[9:10], -v[5:6]
	v_add_f64 v[5:6], v[7:8], 0
	v_add_f64 v[3:4], v[3:4], 0
.LBB89_2:
	s_or_b32 exec_lo, exec_lo, s3
	s_and_saveexec_b32 s3, s0
	s_cbranch_execz .LBB89_8
; %bb.3:
	v_mad_u64_u32 v[7:8], null, s12, v0, 0
	s_lshl_b64 s[0:1], s[10:11], 4
	s_mov_b32 s10, 0
	s_waitcnt lgkmcnt(0)
	s_add_u32 s0, s8, s0
	s_addc_u32 s1, s9, s1
	s_lshl_b64 s[8:9], s[12:13], 13
	v_mad_u64_u32 v[8:9], null, s13, v0, v[8:9]
	v_mov_b32_e32 v9, v0
	v_lshlrev_b64 v[7:8], 4, v[7:8]
	v_add_co_u32 v7, s0, s0, v7
	v_add_co_ci_u32_e64 v8, null, s1, v8, s0
	s_inst_prefetch 0x1
	s_branch .LBB89_5
	.p2align	6
.LBB89_4:                               ;   in Loop: Header=BB89_5 Depth=1
	s_or_b32 exec_lo, exec_lo, s1
	v_add_nc_u32_e32 v9, 0x200, v9
	v_add_co_u32 v7, s0, v7, s8
	v_add_co_ci_u32_e64 v8, null, s9, v8, s0
	v_cmp_le_i32_e64 s0, s14, v9
	v_add_co_u32 v1, s1, 0x2000, v1
	v_add_co_ci_u32_e64 v2, null, 0, v2, s1
	s_or_b32 s10, s0, s10
	s_andn2_b32 exec_lo, exec_lo, s10
	s_cbranch_execz .LBB89_7
.LBB89_5:                               ; =>This Inner Loop Header: Depth=1
	s_mov_b32 s1, exec_lo
	v_cmpx_gt_i32_e64 s6, v9
	s_cbranch_execz .LBB89_4
; %bb.6:                                ;   in Loop: Header=BB89_5 Depth=1
	flat_load_dwordx4 v[10:13], v[1:2]
	flat_load_dwordx4 v[14:17], v[7:8]
	s_waitcnt vmcnt(0) lgkmcnt(0)
	v_mul_f64 v[18:19], v[12:13], v[16:17]
	v_mul_f64 v[12:13], v[12:13], v[14:15]
	v_fma_f64 v[14:15], v[10:11], v[14:15], v[18:19]
	v_fma_f64 v[10:11], v[10:11], v[16:17], -v[12:13]
	v_add_f64 v[5:6], v[5:6], v[14:15]
	v_add_f64 v[3:4], v[3:4], v[10:11]
	s_branch .LBB89_4
.LBB89_7:
	s_inst_prefetch 0x2
	s_or_b32 exec_lo, exec_lo, s10
.LBB89_8:
	s_or_b32 exec_lo, exec_lo, s3
	v_and_b32_e32 v14, 31, v0
	v_cmp_gt_u32_e64 s0, 32, v0
	v_lshlrev_b32_e32 v9, 4, v14
	s_and_saveexec_b32 s1, s0
	s_cbranch_execz .LBB89_10
; %bb.9:
	v_mov_b32_e32 v10, 0
	v_mov_b32_e32 v11, v10
	;; [unrolled: 1-line block ×4, first 2 shown]
	ds_write_b128 v9, v[10:13]
.LBB89_10:
	s_or_b32 exec_lo, exec_lo, s1
	v_mbcnt_lo_u32_b32 v13, -1, 0
	s_mov_b32 s3, exec_lo
	s_waitcnt lgkmcnt(0)
	s_barrier
	buffer_gl0_inv
	v_lshl_or_b32 v8, v13, 2, 64
	v_cmp_gt_u32_e64 s1, 24, v13
	ds_bpermute_b32 v1, v8, v5
	ds_bpermute_b32 v2, v8, v6
	;; [unrolled: 1-line block ×4, first 2 shown]
	s_waitcnt lgkmcnt(2)
	v_add_f64 v[1:2], v[5:6], v[1:2]
	v_cndmask_b32_e64 v5, 0, 8, s1
	s_waitcnt lgkmcnt(0)
	v_add_f64 v[3:4], v[3:4], v[7:8]
	v_cmp_gt_u32_e64 s1, 28, v13
	v_add_lshl_u32 v10, v5, v13, 2
	ds_bpermute_b32 v5, v10, v1
	ds_bpermute_b32 v6, v10, v2
	;; [unrolled: 1-line block ×4, first 2 shown]
	s_waitcnt lgkmcnt(2)
	v_add_f64 v[1:2], v[1:2], v[5:6]
	v_cndmask_b32_e64 v5, 0, 4, s1
	s_waitcnt lgkmcnt(0)
	v_add_f64 v[3:4], v[3:4], v[7:8]
	v_cmp_gt_u32_e64 s1, 30, v13
	v_add_lshl_u32 v11, v5, v13, 2
	ds_bpermute_b32 v5, v11, v1
	ds_bpermute_b32 v6, v11, v2
	;; [unrolled: 1-line block ×4, first 2 shown]
	s_waitcnt lgkmcnt(2)
	v_add_f64 v[1:2], v[1:2], v[5:6]
	v_cndmask_b32_e64 v5, 0, 2, s1
	s_waitcnt lgkmcnt(0)
	v_add_f64 v[3:4], v[3:4], v[7:8]
	v_cmp_ne_u32_e64 s1, 31, v13
	v_add_lshl_u32 v12, v5, v13, 2
	ds_bpermute_b32 v5, v12, v1
	ds_bpermute_b32 v6, v12, v2
	ds_bpermute_b32 v7, v12, v3
	ds_bpermute_b32 v8, v12, v4
	s_waitcnt lgkmcnt(2)
	v_add_f64 v[1:2], v[1:2], v[5:6]
	v_add_co_ci_u32_e64 v5, null, 0, v13, s1
	s_waitcnt lgkmcnt(0)
	v_add_f64 v[3:4], v[3:4], v[7:8]
	v_lshlrev_b32_e32 v13, 2, v5
	ds_bpermute_b32 v5, v13, v1
	ds_bpermute_b32 v6, v13, v2
	;; [unrolled: 1-line block ×4, first 2 shown]
	v_cmpx_eq_u32_e32 0, v14
	s_cbranch_execz .LBB89_12
; %bb.11:
	s_waitcnt lgkmcnt(0)
	v_add_f64 v[3:4], v[3:4], v[7:8]
	v_add_f64 v[1:2], v[1:2], v[5:6]
	v_lshrrev_b32_e32 v5, 1, v0
	v_and_b32_e32 v5, 0xf0, v5
	ds_write_b128 v5, v[1:4]
.LBB89_12:
	s_or_b32 exec_lo, exec_lo, s3
	v_mov_b32_e32 v3, 0
	v_mov_b32_e32 v1, 0
	;; [unrolled: 1-line block ×4, first 2 shown]
	s_mov_b32 s3, exec_lo
	s_waitcnt lgkmcnt(0)
	s_barrier
	buffer_gl0_inv
	v_cmpx_gt_u32_e32 16, v0
	s_cbranch_execnz .LBB89_16
; %bb.13:
	s_or_b32 exec_lo, exec_lo, s3
	s_and_saveexec_b32 s1, s0
	s_cbranch_execnz .LBB89_17
.LBB89_14:
	s_or_b32 exec_lo, exec_lo, s1
	s_and_saveexec_b32 s0, vcc_lo
	s_cbranch_execnz .LBB89_18
.LBB89_15:
	s_endpgm
.LBB89_16:
	ds_read_b128 v[1:4], v9
	s_or_b32 exec_lo, exec_lo, s3
	s_and_saveexec_b32 s1, s0
	s_cbranch_execz .LBB89_14
.LBB89_17:
	s_waitcnt lgkmcnt(0)
	ds_bpermute_b32 v5, v10, v1
	ds_bpermute_b32 v6, v10, v2
	ds_bpermute_b32 v7, v10, v3
	ds_bpermute_b32 v8, v10, v4
	s_waitcnt lgkmcnt(2)
	v_add_f64 v[0:1], v[1:2], v[5:6]
	s_waitcnt lgkmcnt(0)
	v_add_f64 v[2:3], v[3:4], v[7:8]
	ds_bpermute_b32 v4, v11, v0
	ds_bpermute_b32 v5, v11, v1
	ds_bpermute_b32 v6, v11, v2
	ds_bpermute_b32 v7, v11, v3
	s_waitcnt lgkmcnt(2)
	v_add_f64 v[0:1], v[0:1], v[4:5]
	s_waitcnt lgkmcnt(0)
	v_add_f64 v[2:3], v[2:3], v[6:7]
	;; [unrolled: 8-line block ×4, first 2 shown]
	s_or_b32 exec_lo, exec_lo, s1
	s_and_saveexec_b32 s0, vcc_lo
	s_cbranch_execz .LBB89_15
.LBB89_18:
	s_load_dwordx4 s[8:11], s[4:5], 0x48
	v_mov_b32_e32 v0, 0
	s_waitcnt lgkmcnt(0)
	s_mul_i32 s1, s11, s2
	s_mul_hi_u32 s3, s10, s2
	s_mul_i32 s0, s10, s2
	s_add_i32 s1, s3, s1
	s_lshl_b64 s[0:1], s[0:1], 4
	s_add_u32 s2, s8, s0
	s_addc_u32 s3, s9, s1
	s_lshl_b64 s[0:1], s[6:7], 4
	s_add_u32 s0, s2, s0
	s_addc_u32 s1, s3, s1
	global_store_dwordx4 v0, v[1:4], s[0:1]
	s_endpgm
	.section	.rodata,"a",@progbits
	.p2align	6, 0x0
	.amdhsa_kernel _ZL20rocblas_trmvt_kernelILi512ELb0ELb1ELb0EPKPK19rocblas_complex_numIdEPKPS1_S6_EviT3_lllT4_lllT5_li
		.amdhsa_group_segment_fixed_size 512
		.amdhsa_private_segment_fixed_size 0
		.amdhsa_kernarg_size 92
		.amdhsa_user_sgpr_count 6
		.amdhsa_user_sgpr_private_segment_buffer 1
		.amdhsa_user_sgpr_dispatch_ptr 0
		.amdhsa_user_sgpr_queue_ptr 0
		.amdhsa_user_sgpr_kernarg_segment_ptr 1
		.amdhsa_user_sgpr_dispatch_id 0
		.amdhsa_user_sgpr_flat_scratch_init 0
		.amdhsa_user_sgpr_private_segment_size 0
		.amdhsa_wavefront_size32 1
		.amdhsa_uses_dynamic_stack 0
		.amdhsa_system_sgpr_private_segment_wavefront_offset 0
		.amdhsa_system_sgpr_workgroup_id_x 1
		.amdhsa_system_sgpr_workgroup_id_y 0
		.amdhsa_system_sgpr_workgroup_id_z 1
		.amdhsa_system_sgpr_workgroup_info 0
		.amdhsa_system_vgpr_workitem_id 0
		.amdhsa_next_free_vgpr 20
		.amdhsa_next_free_sgpr 24
		.amdhsa_reserve_vcc 1
		.amdhsa_reserve_flat_scratch 0
		.amdhsa_float_round_mode_32 0
		.amdhsa_float_round_mode_16_64 0
		.amdhsa_float_denorm_mode_32 3
		.amdhsa_float_denorm_mode_16_64 3
		.amdhsa_dx10_clamp 1
		.amdhsa_ieee_mode 1
		.amdhsa_fp16_overflow 0
		.amdhsa_workgroup_processor_mode 1
		.amdhsa_memory_ordered 1
		.amdhsa_forward_progress 1
		.amdhsa_shared_vgpr_count 0
		.amdhsa_exception_fp_ieee_invalid_op 0
		.amdhsa_exception_fp_denorm_src 0
		.amdhsa_exception_fp_ieee_div_zero 0
		.amdhsa_exception_fp_ieee_overflow 0
		.amdhsa_exception_fp_ieee_underflow 0
		.amdhsa_exception_fp_ieee_inexact 0
		.amdhsa_exception_int_div_zero 0
	.end_amdhsa_kernel
	.section	.text._ZL20rocblas_trmvt_kernelILi512ELb0ELb1ELb0EPKPK19rocblas_complex_numIdEPKPS1_S6_EviT3_lllT4_lllT5_li,"axG",@progbits,_ZL20rocblas_trmvt_kernelILi512ELb0ELb1ELb0EPKPK19rocblas_complex_numIdEPKPS1_S6_EviT3_lllT4_lllT5_li,comdat
.Lfunc_end89:
	.size	_ZL20rocblas_trmvt_kernelILi512ELb0ELb1ELb0EPKPK19rocblas_complex_numIdEPKPS1_S6_EviT3_lllT4_lllT5_li, .Lfunc_end89-_ZL20rocblas_trmvt_kernelILi512ELb0ELb1ELb0EPKPK19rocblas_complex_numIdEPKPS1_S6_EviT3_lllT4_lllT5_li
                                        ; -- End function
	.set _ZL20rocblas_trmvt_kernelILi512ELb0ELb1ELb0EPKPK19rocblas_complex_numIdEPKPS1_S6_EviT3_lllT4_lllT5_li.num_vgpr, 20
	.set _ZL20rocblas_trmvt_kernelILi512ELb0ELb1ELb0EPKPK19rocblas_complex_numIdEPKPS1_S6_EviT3_lllT4_lllT5_li.num_agpr, 0
	.set _ZL20rocblas_trmvt_kernelILi512ELb0ELb1ELb0EPKPK19rocblas_complex_numIdEPKPS1_S6_EviT3_lllT4_lllT5_li.numbered_sgpr, 24
	.set _ZL20rocblas_trmvt_kernelILi512ELb0ELb1ELb0EPKPK19rocblas_complex_numIdEPKPS1_S6_EviT3_lllT4_lllT5_li.num_named_barrier, 0
	.set _ZL20rocblas_trmvt_kernelILi512ELb0ELb1ELb0EPKPK19rocblas_complex_numIdEPKPS1_S6_EviT3_lllT4_lllT5_li.private_seg_size, 0
	.set _ZL20rocblas_trmvt_kernelILi512ELb0ELb1ELb0EPKPK19rocblas_complex_numIdEPKPS1_S6_EviT3_lllT4_lllT5_li.uses_vcc, 1
	.set _ZL20rocblas_trmvt_kernelILi512ELb0ELb1ELb0EPKPK19rocblas_complex_numIdEPKPS1_S6_EviT3_lllT4_lllT5_li.uses_flat_scratch, 0
	.set _ZL20rocblas_trmvt_kernelILi512ELb0ELb1ELb0EPKPK19rocblas_complex_numIdEPKPS1_S6_EviT3_lllT4_lllT5_li.has_dyn_sized_stack, 0
	.set _ZL20rocblas_trmvt_kernelILi512ELb0ELb1ELb0EPKPK19rocblas_complex_numIdEPKPS1_S6_EviT3_lllT4_lllT5_li.has_recursion, 0
	.set _ZL20rocblas_trmvt_kernelILi512ELb0ELb1ELb0EPKPK19rocblas_complex_numIdEPKPS1_S6_EviT3_lllT4_lllT5_li.has_indirect_call, 0
	.section	.AMDGPU.csdata,"",@progbits
; Kernel info:
; codeLenInByte = 1568
; TotalNumSgprs: 26
; NumVgprs: 20
; ScratchSize: 0
; MemoryBound: 1
; FloatMode: 240
; IeeeMode: 1
; LDSByteSize: 512 bytes/workgroup (compile time only)
; SGPRBlocks: 0
; VGPRBlocks: 2
; NumSGPRsForWavesPerEU: 26
; NumVGPRsForWavesPerEU: 20
; Occupancy: 16
; WaveLimiterHint : 1
; COMPUTE_PGM_RSRC2:SCRATCH_EN: 0
; COMPUTE_PGM_RSRC2:USER_SGPR: 6
; COMPUTE_PGM_RSRC2:TRAP_HANDLER: 0
; COMPUTE_PGM_RSRC2:TGID_X_EN: 1
; COMPUTE_PGM_RSRC2:TGID_Y_EN: 0
; COMPUTE_PGM_RSRC2:TGID_Z_EN: 1
; COMPUTE_PGM_RSRC2:TIDIG_COMP_CNT: 0
	.section	.text._ZL20rocblas_trmvn_kernelILi64ELi16ELb1ELb1EPKPK19rocblas_complex_numIdEPKPS1_S6_EviT3_lllT4_lllT5_li,"axG",@progbits,_ZL20rocblas_trmvn_kernelILi64ELi16ELb1ELb1EPKPK19rocblas_complex_numIdEPKPS1_S6_EviT3_lllT4_lllT5_li,comdat
	.globl	_ZL20rocblas_trmvn_kernelILi64ELi16ELb1ELb1EPKPK19rocblas_complex_numIdEPKPS1_S6_EviT3_lllT4_lllT5_li ; -- Begin function _ZL20rocblas_trmvn_kernelILi64ELi16ELb1ELb1EPKPK19rocblas_complex_numIdEPKPS1_S6_EviT3_lllT4_lllT5_li
	.p2align	8
	.type	_ZL20rocblas_trmvn_kernelILi64ELi16ELb1ELb1EPKPK19rocblas_complex_numIdEPKPS1_S6_EviT3_lllT4_lllT5_li,@function
_ZL20rocblas_trmvn_kernelILi64ELi16ELb1ELb1EPKPK19rocblas_complex_numIdEPKPS1_S6_EviT3_lllT4_lllT5_li: ; @_ZL20rocblas_trmvn_kernelILi64ELi16ELb1ELb1EPKPK19rocblas_complex_numIdEPKPS1_S6_EviT3_lllT4_lllT5_li
; %bb.0:
	s_clause 0x1
	s_load_dwordx4 s[0:3], s[4:5], 0x8
	s_load_dwordx4 s[8:11], s[4:5], 0x28
	s_mov_b32 s12, s7
	s_mov_b32 s13, 0
	s_clause 0x1
	s_load_dword s18, s[4:5], 0x0
	s_load_dwordx2 s[14:15], s[4:5], 0x38
	s_lshl_b64 s[20:21], s[12:13], 3
	v_lshl_add_u32 v6, s6, 6, v0
	v_mov_b32_e32 v2, 0
	v_mov_b32_e32 v3, 0
	;; [unrolled: 1-line block ×4, first 2 shown]
	s_waitcnt lgkmcnt(0)
	s_add_u32 s16, s0, s20
	s_addc_u32 s17, s1, s21
	s_add_u32 s0, s8, s20
	s_addc_u32 s1, s9, s21
	v_cmp_gt_i32_e32 vcc_lo, s18, v6
	s_load_dwordx2 s[8:9], s[0:1], 0x0
	v_cmp_eq_u32_e64 s0, 0, v1
	s_and_b32 s0, s0, vcc_lo
	s_and_saveexec_b32 s1, s0
	s_cbranch_execz .LBB90_2
; %bb.1:
	v_ashrrev_i32_e32 v4, 31, v6
	v_mul_lo_u32 v5, s15, v6
	v_mad_u64_u32 v[2:3], null, s14, v6, 0
	s_lshl_b64 s[6:7], s[10:11], 4
	v_mul_lo_u32 v4, s14, v4
	s_waitcnt lgkmcnt(0)
	s_add_u32 s0, s8, s6
	s_addc_u32 s6, s9, s7
	v_add3_u32 v3, v3, v4, v5
	v_lshlrev_b64 v[2:3], 4, v[2:3]
	v_add_co_u32 v2, s0, s0, v2
	v_add_co_ci_u32_e64 v3, null, s6, v3, s0
	flat_load_dwordx4 v[2:5], v[2:3]
.LBB90_2:
	s_or_b32 exec_lo, exec_lo, s1
	s_load_dword s13, s[4:5], 0x6c
	s_mov_b32 s19, exec_lo
	v_cmpx_gt_i32_e64 s18, v1
	s_cbranch_execz .LBB90_8
; %bb.3:
	s_load_dwordx2 s[6:7], s[4:5], 0x18
	v_mad_u64_u32 v[10:11], null, s14, v1, 0
	s_load_dwordx2 s[16:17], s[16:17], 0x0
	s_lshl_b64 s[0:1], s[10:11], 4
	s_waitcnt lgkmcnt(0)
	s_add_u32 s8, s8, s0
	s_addc_u32 s9, s9, s1
	s_lshl_b64 s[0:1], s[2:3], 4
	s_lshl_b64 s[2:3], s[14:15], 8
	v_mad_u64_u32 v[8:9], null, s6, v1, 0
	v_mov_b32_e32 v7, v9
	v_mad_u64_u32 v[12:13], null, s7, v1, v[7:8]
	v_mov_b32_e32 v7, v11
	s_lshl_b64 s[6:7], s[6:7], 8
	v_mov_b32_e32 v9, v12
	v_mad_u64_u32 v[11:12], null, s15, v1, v[7:8]
	v_ashrrev_i32_e32 v7, 31, v6
	v_lshlrev_b64 v[8:9], 4, v[8:9]
	v_lshlrev_b64 v[12:13], 4, v[6:7]
	v_add_co_u32 v14, s0, v8, s0
	v_add_co_ci_u32_e64 v9, null, s1, v9, s0
	v_lshlrev_b64 v[7:8], 4, v[10:11]
	v_add_co_u32 v10, s0, v14, v12
	v_add_co_ci_u32_e64 v11, null, v9, v13, s0
	v_add_co_u32 v7, s0, s8, v7
	v_add_co_ci_u32_e64 v8, null, s9, v8, s0
	v_add_co_u32 v9, s0, s16, v10
	v_add_co_ci_u32_e64 v10, null, s17, v11, s0
	v_mov_b32_e32 v11, v1
	s_mov_b32 s8, 0
	s_inst_prefetch 0x1
	s_branch .LBB90_5
	.p2align	6
.LBB90_4:                               ;   in Loop: Header=BB90_5 Depth=1
	s_or_b32 exec_lo, exec_lo, s0
	v_add_nc_u32_e32 v11, 16, v11
	v_add_co_u32 v7, s0, v7, s2
	v_add_co_ci_u32_e64 v8, null, s3, v8, s0
	v_cmp_le_i32_e64 s0, s18, v11
	v_add_co_u32 v9, s1, v9, s6
	v_add_co_ci_u32_e64 v10, null, s7, v10, s1
	s_or_b32 s8, s0, s8
	s_andn2_b32 exec_lo, exec_lo, s8
	s_cbranch_execz .LBB90_7
.LBB90_5:                               ; =>This Inner Loop Header: Depth=1
	v_cmp_lt_i32_e64 s0, v11, v6
	s_and_b32 s1, vcc_lo, s0
	s_and_saveexec_b32 s0, s1
	s_cbranch_execz .LBB90_4
; %bb.6:                                ;   in Loop: Header=BB90_5 Depth=1
	flat_load_dwordx4 v[12:15], v[7:8]
	flat_load_dwordx4 v[16:19], v[9:10]
	s_waitcnt vmcnt(0) lgkmcnt(0)
	v_mul_f64 v[20:21], v[14:15], v[18:19]
	v_mul_f64 v[18:19], v[12:13], v[18:19]
	v_fma_f64 v[12:13], v[12:13], v[16:17], -v[20:21]
	v_fma_f64 v[14:15], v[14:15], v[16:17], v[18:19]
	v_add_f64 v[2:3], v[2:3], v[12:13]
	v_add_f64 v[4:5], v[4:5], v[14:15]
	s_branch .LBB90_4
.LBB90_7:
	s_inst_prefetch 0x2
	s_or_b32 exec_lo, exec_lo, s8
.LBB90_8:
	s_or_b32 exec_lo, exec_lo, s19
	v_lshlrev_b32_e32 v7, 4, v0
	s_waitcnt lgkmcnt(0)
	s_and_b32 s1, 0xffff, s13
	s_mov_b32 s2, exec_lo
	v_mad_u32_u24 v0, v1, s1, v0
	v_lshl_add_u32 v8, v1, 10, v7
	s_waitcnt vmcnt(0)
	ds_write_b128 v8, v[2:5]
	s_waitcnt lgkmcnt(0)
	s_barrier
	buffer_gl0_inv
	v_cmpx_gt_u32_e32 64, v0
	s_cbranch_execz .LBB90_11
; %bb.9:
	v_mul_u32_u24_e32 v0, s1, v1
	v_lshl_add_u32 v0, v0, 4, v7
	ds_read_b128 v[1:4], v0
	ds_read_b128 v[7:10], v0 offset:1024
	s_waitcnt lgkmcnt(0)
	v_add_f64 v[11:12], v[1:2], v[7:8]
	v_add_f64 v[13:14], v[3:4], v[9:10]
	ds_read_b128 v[1:4], v0 offset:2048
	ds_read_b128 v[7:10], v0 offset:3072
	s_waitcnt lgkmcnt(1)
	v_add_f64 v[1:2], v[11:12], v[1:2]
	v_add_f64 v[3:4], v[13:14], v[3:4]
	s_waitcnt lgkmcnt(0)
	v_add_f64 v[11:12], v[1:2], v[7:8]
	v_add_f64 v[13:14], v[3:4], v[9:10]
	ds_read_b128 v[1:4], v0 offset:4096
	ds_read_b128 v[7:10], v0 offset:5120
	s_waitcnt lgkmcnt(1)
	v_add_f64 v[1:2], v[11:12], v[1:2]
	v_add_f64 v[3:4], v[13:14], v[3:4]
	s_waitcnt lgkmcnt(0)
	v_add_f64 v[11:12], v[1:2], v[7:8]
	v_add_f64 v[13:14], v[3:4], v[9:10]
	ds_read_b128 v[1:4], v0 offset:6144
	ds_read_b128 v[7:10], v0 offset:7168
	s_waitcnt lgkmcnt(1)
	v_add_f64 v[1:2], v[11:12], v[1:2]
	v_add_f64 v[3:4], v[13:14], v[3:4]
	s_waitcnt lgkmcnt(0)
	v_add_f64 v[11:12], v[1:2], v[7:8]
	v_add_f64 v[13:14], v[3:4], v[9:10]
	ds_read_b128 v[1:4], v0 offset:8192
	ds_read_b128 v[7:10], v0 offset:9216
	s_waitcnt lgkmcnt(1)
	v_add_f64 v[1:2], v[11:12], v[1:2]
	v_add_f64 v[3:4], v[13:14], v[3:4]
	s_waitcnt lgkmcnt(0)
	v_add_f64 v[11:12], v[1:2], v[7:8]
	v_add_f64 v[13:14], v[3:4], v[9:10]
	ds_read_b128 v[1:4], v0 offset:10240
	ds_read_b128 v[7:10], v0 offset:11264
	s_waitcnt lgkmcnt(1)
	v_add_f64 v[1:2], v[11:12], v[1:2]
	v_add_f64 v[3:4], v[13:14], v[3:4]
	s_waitcnt lgkmcnt(0)
	v_add_f64 v[11:12], v[1:2], v[7:8]
	v_add_f64 v[13:14], v[3:4], v[9:10]
	ds_read_b128 v[1:4], v0 offset:12288
	ds_read_b128 v[7:10], v0 offset:13312
	s_waitcnt lgkmcnt(1)
	v_add_f64 v[1:2], v[11:12], v[1:2]
	v_add_f64 v[3:4], v[13:14], v[3:4]
	s_waitcnt lgkmcnt(0)
	v_add_f64 v[11:12], v[1:2], v[7:8]
	v_add_f64 v[13:14], v[3:4], v[9:10]
	ds_read_b128 v[1:4], v0 offset:14336
	ds_read_b128 v[7:10], v0 offset:15360
	s_waitcnt lgkmcnt(1)
	v_add_f64 v[1:2], v[11:12], v[1:2]
	v_add_f64 v[3:4], v[13:14], v[3:4]
	s_waitcnt lgkmcnt(0)
	v_add_f64 v[1:2], v[1:2], v[7:8]
	v_add_f64 v[3:4], v[3:4], v[9:10]
	ds_write_b128 v0, v[1:4]
	s_and_b32 exec_lo, exec_lo, vcc_lo
	s_cbranch_execz .LBB90_11
; %bb.10:
	s_load_dwordx4 s[0:3], s[4:5], 0x48
	ds_read2_b64 v[0:3], v0 offset1:1
	v_ashrrev_i32_e32 v7, 31, v6
	v_lshlrev_b64 v[4:5], 4, v[6:7]
	s_waitcnt lgkmcnt(0)
	s_mul_i32 s3, s3, s12
	s_mul_hi_u32 s4, s2, s12
	s_mul_i32 s2, s2, s12
	s_add_i32 s3, s4, s3
	s_lshl_b64 s[2:3], s[2:3], 4
	s_add_u32 s0, s0, s2
	s_addc_u32 s1, s1, s3
	v_add_co_u32 v4, vcc_lo, s0, v4
	v_add_co_ci_u32_e64 v5, null, s1, v5, vcc_lo
	global_store_dwordx4 v[4:5], v[0:3], off
.LBB90_11:
	s_endpgm
	.section	.rodata,"a",@progbits
	.p2align	6, 0x0
	.amdhsa_kernel _ZL20rocblas_trmvn_kernelILi64ELi16ELb1ELb1EPKPK19rocblas_complex_numIdEPKPS1_S6_EviT3_lllT4_lllT5_li
		.amdhsa_group_segment_fixed_size 16384
		.amdhsa_private_segment_fixed_size 0
		.amdhsa_kernarg_size 352
		.amdhsa_user_sgpr_count 6
		.amdhsa_user_sgpr_private_segment_buffer 1
		.amdhsa_user_sgpr_dispatch_ptr 0
		.amdhsa_user_sgpr_queue_ptr 0
		.amdhsa_user_sgpr_kernarg_segment_ptr 1
		.amdhsa_user_sgpr_dispatch_id 0
		.amdhsa_user_sgpr_flat_scratch_init 0
		.amdhsa_user_sgpr_private_segment_size 0
		.amdhsa_wavefront_size32 1
		.amdhsa_uses_dynamic_stack 0
		.amdhsa_system_sgpr_private_segment_wavefront_offset 0
		.amdhsa_system_sgpr_workgroup_id_x 1
		.amdhsa_system_sgpr_workgroup_id_y 0
		.amdhsa_system_sgpr_workgroup_id_z 1
		.amdhsa_system_sgpr_workgroup_info 0
		.amdhsa_system_vgpr_workitem_id 1
		.amdhsa_next_free_vgpr 22
		.amdhsa_next_free_sgpr 22
		.amdhsa_reserve_vcc 1
		.amdhsa_reserve_flat_scratch 0
		.amdhsa_float_round_mode_32 0
		.amdhsa_float_round_mode_16_64 0
		.amdhsa_float_denorm_mode_32 3
		.amdhsa_float_denorm_mode_16_64 3
		.amdhsa_dx10_clamp 1
		.amdhsa_ieee_mode 1
		.amdhsa_fp16_overflow 0
		.amdhsa_workgroup_processor_mode 1
		.amdhsa_memory_ordered 1
		.amdhsa_forward_progress 1
		.amdhsa_shared_vgpr_count 0
		.amdhsa_exception_fp_ieee_invalid_op 0
		.amdhsa_exception_fp_denorm_src 0
		.amdhsa_exception_fp_ieee_div_zero 0
		.amdhsa_exception_fp_ieee_overflow 0
		.amdhsa_exception_fp_ieee_underflow 0
		.amdhsa_exception_fp_ieee_inexact 0
		.amdhsa_exception_int_div_zero 0
	.end_amdhsa_kernel
	.section	.text._ZL20rocblas_trmvn_kernelILi64ELi16ELb1ELb1EPKPK19rocblas_complex_numIdEPKPS1_S6_EviT3_lllT4_lllT5_li,"axG",@progbits,_ZL20rocblas_trmvn_kernelILi64ELi16ELb1ELb1EPKPK19rocblas_complex_numIdEPKPS1_S6_EviT3_lllT4_lllT5_li,comdat
.Lfunc_end90:
	.size	_ZL20rocblas_trmvn_kernelILi64ELi16ELb1ELb1EPKPK19rocblas_complex_numIdEPKPS1_S6_EviT3_lllT4_lllT5_li, .Lfunc_end90-_ZL20rocblas_trmvn_kernelILi64ELi16ELb1ELb1EPKPK19rocblas_complex_numIdEPKPS1_S6_EviT3_lllT4_lllT5_li
                                        ; -- End function
	.set _ZL20rocblas_trmvn_kernelILi64ELi16ELb1ELb1EPKPK19rocblas_complex_numIdEPKPS1_S6_EviT3_lllT4_lllT5_li.num_vgpr, 22
	.set _ZL20rocblas_trmvn_kernelILi64ELi16ELb1ELb1EPKPK19rocblas_complex_numIdEPKPS1_S6_EviT3_lllT4_lllT5_li.num_agpr, 0
	.set _ZL20rocblas_trmvn_kernelILi64ELi16ELb1ELb1EPKPK19rocblas_complex_numIdEPKPS1_S6_EviT3_lllT4_lllT5_li.numbered_sgpr, 22
	.set _ZL20rocblas_trmvn_kernelILi64ELi16ELb1ELb1EPKPK19rocblas_complex_numIdEPKPS1_S6_EviT3_lllT4_lllT5_li.num_named_barrier, 0
	.set _ZL20rocblas_trmvn_kernelILi64ELi16ELb1ELb1EPKPK19rocblas_complex_numIdEPKPS1_S6_EviT3_lllT4_lllT5_li.private_seg_size, 0
	.set _ZL20rocblas_trmvn_kernelILi64ELi16ELb1ELb1EPKPK19rocblas_complex_numIdEPKPS1_S6_EviT3_lllT4_lllT5_li.uses_vcc, 1
	.set _ZL20rocblas_trmvn_kernelILi64ELi16ELb1ELb1EPKPK19rocblas_complex_numIdEPKPS1_S6_EviT3_lllT4_lllT5_li.uses_flat_scratch, 0
	.set _ZL20rocblas_trmvn_kernelILi64ELi16ELb1ELb1EPKPK19rocblas_complex_numIdEPKPS1_S6_EviT3_lllT4_lllT5_li.has_dyn_sized_stack, 0
	.set _ZL20rocblas_trmvn_kernelILi64ELi16ELb1ELb1EPKPK19rocblas_complex_numIdEPKPS1_S6_EviT3_lllT4_lllT5_li.has_recursion, 0
	.set _ZL20rocblas_trmvn_kernelILi64ELi16ELb1ELb1EPKPK19rocblas_complex_numIdEPKPS1_S6_EviT3_lllT4_lllT5_li.has_indirect_call, 0
	.section	.AMDGPU.csdata,"",@progbits
; Kernel info:
; codeLenInByte = 1228
; TotalNumSgprs: 24
; NumVgprs: 22
; ScratchSize: 0
; MemoryBound: 1
; FloatMode: 240
; IeeeMode: 1
; LDSByteSize: 16384 bytes/workgroup (compile time only)
; SGPRBlocks: 0
; VGPRBlocks: 2
; NumSGPRsForWavesPerEU: 24
; NumVGPRsForWavesPerEU: 22
; Occupancy: 16
; WaveLimiterHint : 1
; COMPUTE_PGM_RSRC2:SCRATCH_EN: 0
; COMPUTE_PGM_RSRC2:USER_SGPR: 6
; COMPUTE_PGM_RSRC2:TRAP_HANDLER: 0
; COMPUTE_PGM_RSRC2:TGID_X_EN: 1
; COMPUTE_PGM_RSRC2:TGID_Y_EN: 0
; COMPUTE_PGM_RSRC2:TGID_Z_EN: 1
; COMPUTE_PGM_RSRC2:TIDIG_COMP_CNT: 1
	.section	.text._ZL20rocblas_trmvt_kernelILi512ELb1ELb0ELb1EPKPK19rocblas_complex_numIdEPKPS1_S6_EviT3_lllT4_lllT5_li,"axG",@progbits,_ZL20rocblas_trmvt_kernelILi512ELb1ELb0ELb1EPKPK19rocblas_complex_numIdEPKPS1_S6_EviT3_lllT4_lllT5_li,comdat
	.globl	_ZL20rocblas_trmvt_kernelILi512ELb1ELb0ELb1EPKPK19rocblas_complex_numIdEPKPS1_S6_EviT3_lllT4_lllT5_li ; -- Begin function _ZL20rocblas_trmvt_kernelILi512ELb1ELb0ELb1EPKPK19rocblas_complex_numIdEPKPS1_S6_EviT3_lllT4_lllT5_li
	.p2align	8
	.type	_ZL20rocblas_trmvt_kernelILi512ELb1ELb0ELb1EPKPK19rocblas_complex_numIdEPKPS1_S6_EviT3_lllT4_lllT5_li,@function
_ZL20rocblas_trmvt_kernelILi512ELb1ELb0ELb1EPKPK19rocblas_complex_numIdEPKPS1_S6_EviT3_lllT4_lllT5_li: ; @_ZL20rocblas_trmvt_kernelILi512ELb1ELb0ELb1EPKPK19rocblas_complex_numIdEPKPS1_S6_EviT3_lllT4_lllT5_li
; %bb.0:
	s_clause 0x1
	s_load_dwordx4 s[8:11], s[4:5], 0x8
	s_load_dwordx4 s[0:3], s[4:5], 0x28
	s_mov_b32 s12, s7
	s_mov_b32 s13, 0
	v_mov_b32_e32 v3, 0
	s_lshl_b64 s[14:15], s[12:13], 3
	v_mov_b32_e32 v1, 0
	v_mov_b32_e32 v4, 0
	;; [unrolled: 1-line block ×3, first 2 shown]
	v_cmp_eq_u32_e32 vcc_lo, 0, v0
	s_waitcnt lgkmcnt(0)
	s_add_u32 s16, s8, s14
	s_addc_u32 s17, s9, s15
	s_add_u32 s0, s0, s14
	s_addc_u32 s1, s1, s15
	s_load_dwordx2 s[8:9], s[4:5], 0x38
	s_load_dwordx2 s[14:15], s[0:1], 0x0
	s_ashr_i32 s7, s6, 31
	s_and_saveexec_b32 s0, vcc_lo
	s_cbranch_execz .LBB91_2
; %bb.1:
	s_lshl_b64 s[18:19], s[2:3], 4
	s_waitcnt lgkmcnt(0)
	s_mul_i32 s1, s8, s7
	s_add_u32 s13, s14, s18
	s_mul_hi_u32 s18, s8, s6
	s_addc_u32 s20, s15, s19
	s_add_i32 s1, s18, s1
	s_mul_i32 s18, s9, s6
	s_add_i32 s19, s1, s18
	s_mul_i32 s18, s8, s6
	s_lshl_b64 s[18:19], s[18:19], 4
	s_add_u32 s18, s13, s18
	s_addc_u32 s19, s20, s19
	v_mov_b32_e32 v1, s18
	v_mov_b32_e32 v2, s19
	flat_load_dwordx4 v[3:6], v[1:2]
	s_waitcnt vmcnt(0) lgkmcnt(0)
	v_add_f64 v[3:4], v[3:4], 0
	v_add_f64 v[1:2], v[5:6], 0
.LBB91_2:
	s_or_b32 exec_lo, exec_lo, s0
	s_load_dword s18, s[4:5], 0x0
	s_waitcnt lgkmcnt(0)
	v_cmp_gt_i32_e64 s0, s18, v0
	s_and_saveexec_b32 s13, s0
	s_cbranch_execz .LBB91_8
; %bb.3:
	s_load_dwordx2 s[16:17], s[16:17], 0x0
	s_load_dwordx2 s[20:21], s[4:5], 0x18
	v_mad_u64_u32 v[5:6], null, s8, v0, 0
	v_cndmask_b32_e64 v8, 0, v0, s0
	s_lshl_b64 s[0:1], s[10:11], 4
	v_mad_u64_u32 v[6:7], null, s9, v0, v[6:7]
	v_lshlrev_b32_e32 v7, 4, v8
	s_waitcnt lgkmcnt(0)
	s_add_u32 s10, s16, s0
	s_mul_i32 s11, s20, s7
	s_mul_hi_u32 s16, s20, s6
	s_mul_i32 s19, s21, s6
	s_addc_u32 s17, s17, s1
	s_add_i32 s1, s16, s11
	v_add_co_u32 v9, s10, s10, v7
	s_mul_i32 s0, s20, s6
	s_add_i32 s1, s1, s19
	v_add_co_ci_u32_e64 v10, null, s17, 0, s10
	s_lshl_b64 s[0:1], s[0:1], 4
	v_lshlrev_b64 v[7:8], 4, v[5:6]
	s_lshl_b64 s[2:3], s[2:3], 4
	v_add_co_u32 v5, s0, v9, s0
	v_add_co_ci_u32_e64 v6, null, s1, v10, s0
	s_add_u32 s0, s14, s2
	s_addc_u32 s1, s15, s3
	v_add_co_u32 v7, s0, s0, v7
	v_add_co_ci_u32_e64 v8, null, s1, v8, s0
	v_mov_b32_e32 v9, v0
	s_mov_b32 s10, 0
	s_lshl_b64 s[2:3], s[8:9], 13
	s_inst_prefetch 0x1
	s_branch .LBB91_5
	.p2align	6
.LBB91_4:                               ;   in Loop: Header=BB91_5 Depth=1
	s_or_b32 exec_lo, exec_lo, s1
	v_add_nc_u32_e32 v9, 0x200, v9
	v_add_co_u32 v7, s0, v7, s2
	v_add_co_ci_u32_e64 v8, null, s3, v8, s0
	v_cmp_le_i32_e64 s0, s18, v9
	v_add_co_u32 v5, s1, 0x2000, v5
	v_add_co_ci_u32_e64 v6, null, 0, v6, s1
	s_or_b32 s10, s0, s10
	s_andn2_b32 exec_lo, exec_lo, s10
	s_cbranch_execz .LBB91_7
.LBB91_5:                               ; =>This Inner Loop Header: Depth=1
	s_mov_b32 s1, exec_lo
	v_cmpx_lt_i32_e64 s6, v9
	s_cbranch_execz .LBB91_4
; %bb.6:                                ;   in Loop: Header=BB91_5 Depth=1
	flat_load_dwordx4 v[10:13], v[5:6]
	flat_load_dwordx4 v[14:17], v[7:8]
	s_waitcnt vmcnt(0) lgkmcnt(0)
	v_mul_f64 v[18:19], v[12:13], v[16:17]
	v_mul_f64 v[16:17], v[10:11], v[16:17]
	v_fma_f64 v[10:11], v[10:11], v[14:15], -v[18:19]
	v_fma_f64 v[12:13], v[12:13], v[14:15], v[16:17]
	v_add_f64 v[3:4], v[3:4], v[10:11]
	v_add_f64 v[1:2], v[1:2], v[12:13]
	s_branch .LBB91_4
.LBB91_7:
	s_inst_prefetch 0x2
	s_or_b32 exec_lo, exec_lo, s10
.LBB91_8:
	s_or_b32 exec_lo, exec_lo, s13
	v_and_b32_e32 v14, 31, v0
	v_cmp_gt_u32_e64 s0, 32, v0
	v_lshlrev_b32_e32 v9, 4, v14
	s_and_saveexec_b32 s1, s0
	s_cbranch_execz .LBB91_10
; %bb.9:
	v_mov_b32_e32 v5, 0
	v_mov_b32_e32 v6, v5
	;; [unrolled: 1-line block ×4, first 2 shown]
	ds_write_b128 v9, v[5:8]
.LBB91_10:
	s_or_b32 exec_lo, exec_lo, s1
	v_mbcnt_lo_u32_b32 v13, -1, 0
	s_mov_b32 s2, exec_lo
	s_waitcnt lgkmcnt(0)
	s_barrier
	buffer_gl0_inv
	v_lshl_or_b32 v8, v13, 2, 64
	v_cmp_gt_u32_e64 s1, 24, v13
	ds_bpermute_b32 v5, v8, v3
	ds_bpermute_b32 v6, v8, v4
	;; [unrolled: 1-line block ×4, first 2 shown]
	s_waitcnt lgkmcnt(2)
	v_add_f64 v[3:4], v[3:4], v[5:6]
	v_cndmask_b32_e64 v5, 0, 8, s1
	s_waitcnt lgkmcnt(0)
	v_add_f64 v[1:2], v[1:2], v[7:8]
	v_cmp_gt_u32_e64 s1, 28, v13
	v_add_lshl_u32 v10, v5, v13, 2
	ds_bpermute_b32 v5, v10, v3
	ds_bpermute_b32 v6, v10, v4
	;; [unrolled: 1-line block ×4, first 2 shown]
	s_waitcnt lgkmcnt(2)
	v_add_f64 v[3:4], v[3:4], v[5:6]
	v_cndmask_b32_e64 v5, 0, 4, s1
	s_waitcnt lgkmcnt(0)
	v_add_f64 v[1:2], v[1:2], v[7:8]
	v_cmp_gt_u32_e64 s1, 30, v13
	v_add_lshl_u32 v11, v5, v13, 2
	ds_bpermute_b32 v5, v11, v3
	ds_bpermute_b32 v6, v11, v4
	;; [unrolled: 1-line block ×4, first 2 shown]
	s_waitcnt lgkmcnt(2)
	v_add_f64 v[3:4], v[3:4], v[5:6]
	s_waitcnt lgkmcnt(0)
	v_add_f64 v[5:6], v[1:2], v[7:8]
	v_cndmask_b32_e64 v1, 0, 2, s1
	v_cmp_ne_u32_e64 s1, 31, v13
	v_add_lshl_u32 v12, v1, v13, 2
	ds_bpermute_b32 v1, v12, v3
	ds_bpermute_b32 v2, v12, v4
	;; [unrolled: 1-line block ×4, first 2 shown]
	s_waitcnt lgkmcnt(2)
	v_add_f64 v[1:2], v[3:4], v[1:2]
	s_waitcnt lgkmcnt(0)
	v_add_f64 v[3:4], v[5:6], v[7:8]
	v_add_co_ci_u32_e64 v5, null, 0, v13, s1
	v_lshlrev_b32_e32 v13, 2, v5
	ds_bpermute_b32 v5, v13, v1
	ds_bpermute_b32 v6, v13, v2
	;; [unrolled: 1-line block ×4, first 2 shown]
	v_cmpx_eq_u32_e32 0, v14
	s_cbranch_execz .LBB91_12
; %bb.11:
	s_waitcnt lgkmcnt(0)
	v_add_f64 v[3:4], v[3:4], v[7:8]
	v_add_f64 v[1:2], v[1:2], v[5:6]
	v_lshrrev_b32_e32 v5, 1, v0
	v_and_b32_e32 v5, 0xf0, v5
	ds_write_b128 v5, v[1:4]
.LBB91_12:
	s_or_b32 exec_lo, exec_lo, s2
	v_mov_b32_e32 v3, 0
	v_mov_b32_e32 v1, 0
	;; [unrolled: 1-line block ×4, first 2 shown]
	s_mov_b32 s2, exec_lo
	s_waitcnt lgkmcnt(0)
	s_barrier
	buffer_gl0_inv
	v_cmpx_gt_u32_e32 16, v0
	s_cbranch_execnz .LBB91_16
; %bb.13:
	s_or_b32 exec_lo, exec_lo, s2
	s_and_saveexec_b32 s1, s0
	s_cbranch_execnz .LBB91_17
.LBB91_14:
	s_or_b32 exec_lo, exec_lo, s1
	s_and_saveexec_b32 s0, vcc_lo
	s_cbranch_execnz .LBB91_18
.LBB91_15:
	s_endpgm
.LBB91_16:
	ds_read_b128 v[1:4], v9
	s_or_b32 exec_lo, exec_lo, s2
	s_and_saveexec_b32 s1, s0
	s_cbranch_execz .LBB91_14
.LBB91_17:
	s_waitcnt lgkmcnt(0)
	ds_bpermute_b32 v5, v10, v1
	ds_bpermute_b32 v6, v10, v2
	ds_bpermute_b32 v7, v10, v3
	ds_bpermute_b32 v8, v10, v4
	s_waitcnt lgkmcnt(2)
	v_add_f64 v[0:1], v[1:2], v[5:6]
	s_waitcnt lgkmcnt(0)
	v_add_f64 v[2:3], v[3:4], v[7:8]
	ds_bpermute_b32 v4, v11, v0
	ds_bpermute_b32 v5, v11, v1
	ds_bpermute_b32 v6, v11, v2
	ds_bpermute_b32 v7, v11, v3
	s_waitcnt lgkmcnt(2)
	v_add_f64 v[0:1], v[0:1], v[4:5]
	s_waitcnt lgkmcnt(0)
	v_add_f64 v[2:3], v[2:3], v[6:7]
	;; [unrolled: 8-line block ×4, first 2 shown]
	s_or_b32 exec_lo, exec_lo, s1
	s_and_saveexec_b32 s0, vcc_lo
	s_cbranch_execz .LBB91_15
.LBB91_18:
	s_load_dwordx4 s[0:3], s[4:5], 0x48
	v_mov_b32_e32 v0, 0
	s_waitcnt lgkmcnt(0)
	s_mul_i32 s3, s3, s12
	s_mul_hi_u32 s4, s2, s12
	s_mul_i32 s2, s2, s12
	s_add_i32 s3, s4, s3
	s_lshl_b64 s[2:3], s[2:3], 4
	s_add_u32 s2, s0, s2
	s_addc_u32 s3, s1, s3
	s_lshl_b64 s[0:1], s[6:7], 4
	s_add_u32 s0, s2, s0
	s_addc_u32 s1, s3, s1
	global_store_dwordx4 v0, v[1:4], s[0:1]
	s_endpgm
	.section	.rodata,"a",@progbits
	.p2align	6, 0x0
	.amdhsa_kernel _ZL20rocblas_trmvt_kernelILi512ELb1ELb0ELb1EPKPK19rocblas_complex_numIdEPKPS1_S6_EviT3_lllT4_lllT5_li
		.amdhsa_group_segment_fixed_size 512
		.amdhsa_private_segment_fixed_size 0
		.amdhsa_kernarg_size 92
		.amdhsa_user_sgpr_count 6
		.amdhsa_user_sgpr_private_segment_buffer 1
		.amdhsa_user_sgpr_dispatch_ptr 0
		.amdhsa_user_sgpr_queue_ptr 0
		.amdhsa_user_sgpr_kernarg_segment_ptr 1
		.amdhsa_user_sgpr_dispatch_id 0
		.amdhsa_user_sgpr_flat_scratch_init 0
		.amdhsa_user_sgpr_private_segment_size 0
		.amdhsa_wavefront_size32 1
		.amdhsa_uses_dynamic_stack 0
		.amdhsa_system_sgpr_private_segment_wavefront_offset 0
		.amdhsa_system_sgpr_workgroup_id_x 1
		.amdhsa_system_sgpr_workgroup_id_y 0
		.amdhsa_system_sgpr_workgroup_id_z 1
		.amdhsa_system_sgpr_workgroup_info 0
		.amdhsa_system_vgpr_workitem_id 0
		.amdhsa_next_free_vgpr 20
		.amdhsa_next_free_sgpr 22
		.amdhsa_reserve_vcc 1
		.amdhsa_reserve_flat_scratch 0
		.amdhsa_float_round_mode_32 0
		.amdhsa_float_round_mode_16_64 0
		.amdhsa_float_denorm_mode_32 3
		.amdhsa_float_denorm_mode_16_64 3
		.amdhsa_dx10_clamp 1
		.amdhsa_ieee_mode 1
		.amdhsa_fp16_overflow 0
		.amdhsa_workgroup_processor_mode 1
		.amdhsa_memory_ordered 1
		.amdhsa_forward_progress 1
		.amdhsa_shared_vgpr_count 0
		.amdhsa_exception_fp_ieee_invalid_op 0
		.amdhsa_exception_fp_denorm_src 0
		.amdhsa_exception_fp_ieee_div_zero 0
		.amdhsa_exception_fp_ieee_overflow 0
		.amdhsa_exception_fp_ieee_underflow 0
		.amdhsa_exception_fp_ieee_inexact 0
		.amdhsa_exception_int_div_zero 0
	.end_amdhsa_kernel
	.section	.text._ZL20rocblas_trmvt_kernelILi512ELb1ELb0ELb1EPKPK19rocblas_complex_numIdEPKPS1_S6_EviT3_lllT4_lllT5_li,"axG",@progbits,_ZL20rocblas_trmvt_kernelILi512ELb1ELb0ELb1EPKPK19rocblas_complex_numIdEPKPS1_S6_EviT3_lllT4_lllT5_li,comdat
.Lfunc_end91:
	.size	_ZL20rocblas_trmvt_kernelILi512ELb1ELb0ELb1EPKPK19rocblas_complex_numIdEPKPS1_S6_EviT3_lllT4_lllT5_li, .Lfunc_end91-_ZL20rocblas_trmvt_kernelILi512ELb1ELb0ELb1EPKPK19rocblas_complex_numIdEPKPS1_S6_EviT3_lllT4_lllT5_li
                                        ; -- End function
	.set _ZL20rocblas_trmvt_kernelILi512ELb1ELb0ELb1EPKPK19rocblas_complex_numIdEPKPS1_S6_EviT3_lllT4_lllT5_li.num_vgpr, 20
	.set _ZL20rocblas_trmvt_kernelILi512ELb1ELb0ELb1EPKPK19rocblas_complex_numIdEPKPS1_S6_EviT3_lllT4_lllT5_li.num_agpr, 0
	.set _ZL20rocblas_trmvt_kernelILi512ELb1ELb0ELb1EPKPK19rocblas_complex_numIdEPKPS1_S6_EviT3_lllT4_lllT5_li.numbered_sgpr, 22
	.set _ZL20rocblas_trmvt_kernelILi512ELb1ELb0ELb1EPKPK19rocblas_complex_numIdEPKPS1_S6_EviT3_lllT4_lllT5_li.num_named_barrier, 0
	.set _ZL20rocblas_trmvt_kernelILi512ELb1ELb0ELb1EPKPK19rocblas_complex_numIdEPKPS1_S6_EviT3_lllT4_lllT5_li.private_seg_size, 0
	.set _ZL20rocblas_trmvt_kernelILi512ELb1ELb0ELb1EPKPK19rocblas_complex_numIdEPKPS1_S6_EviT3_lllT4_lllT5_li.uses_vcc, 1
	.set _ZL20rocblas_trmvt_kernelILi512ELb1ELb0ELb1EPKPK19rocblas_complex_numIdEPKPS1_S6_EviT3_lllT4_lllT5_li.uses_flat_scratch, 0
	.set _ZL20rocblas_trmvt_kernelILi512ELb1ELb0ELb1EPKPK19rocblas_complex_numIdEPKPS1_S6_EviT3_lllT4_lllT5_li.has_dyn_sized_stack, 0
	.set _ZL20rocblas_trmvt_kernelILi512ELb1ELb0ELb1EPKPK19rocblas_complex_numIdEPKPS1_S6_EviT3_lllT4_lllT5_li.has_recursion, 0
	.set _ZL20rocblas_trmvt_kernelILi512ELb1ELb0ELb1EPKPK19rocblas_complex_numIdEPKPS1_S6_EviT3_lllT4_lllT5_li.has_indirect_call, 0
	.section	.AMDGPU.csdata,"",@progbits
; Kernel info:
; codeLenInByte = 1504
; TotalNumSgprs: 24
; NumVgprs: 20
; ScratchSize: 0
; MemoryBound: 1
; FloatMode: 240
; IeeeMode: 1
; LDSByteSize: 512 bytes/workgroup (compile time only)
; SGPRBlocks: 0
; VGPRBlocks: 2
; NumSGPRsForWavesPerEU: 24
; NumVGPRsForWavesPerEU: 20
; Occupancy: 16
; WaveLimiterHint : 1
; COMPUTE_PGM_RSRC2:SCRATCH_EN: 0
; COMPUTE_PGM_RSRC2:USER_SGPR: 6
; COMPUTE_PGM_RSRC2:TRAP_HANDLER: 0
; COMPUTE_PGM_RSRC2:TGID_X_EN: 1
; COMPUTE_PGM_RSRC2:TGID_Y_EN: 0
; COMPUTE_PGM_RSRC2:TGID_Z_EN: 1
; COMPUTE_PGM_RSRC2:TIDIG_COMP_CNT: 0
	.section	.text._ZL20rocblas_trmvt_kernelILi512ELb1ELb1ELb1EPKPK19rocblas_complex_numIdEPKPS1_S6_EviT3_lllT4_lllT5_li,"axG",@progbits,_ZL20rocblas_trmvt_kernelILi512ELb1ELb1ELb1EPKPK19rocblas_complex_numIdEPKPS1_S6_EviT3_lllT4_lllT5_li,comdat
	.globl	_ZL20rocblas_trmvt_kernelILi512ELb1ELb1ELb1EPKPK19rocblas_complex_numIdEPKPS1_S6_EviT3_lllT4_lllT5_li ; -- Begin function _ZL20rocblas_trmvt_kernelILi512ELb1ELb1ELb1EPKPK19rocblas_complex_numIdEPKPS1_S6_EviT3_lllT4_lllT5_li
	.p2align	8
	.type	_ZL20rocblas_trmvt_kernelILi512ELb1ELb1ELb1EPKPK19rocblas_complex_numIdEPKPS1_S6_EviT3_lllT4_lllT5_li,@function
_ZL20rocblas_trmvt_kernelILi512ELb1ELb1ELb1EPKPK19rocblas_complex_numIdEPKPS1_S6_EviT3_lllT4_lllT5_li: ; @_ZL20rocblas_trmvt_kernelILi512ELb1ELb1ELb1EPKPK19rocblas_complex_numIdEPKPS1_S6_EviT3_lllT4_lllT5_li
; %bb.0:
	s_clause 0x1
	s_load_dwordx4 s[8:11], s[4:5], 0x8
	s_load_dwordx4 s[0:3], s[4:5], 0x28
	s_mov_b32 s12, s7
	s_mov_b32 s13, 0
	v_mov_b32_e32 v3, 0
	s_lshl_b64 s[14:15], s[12:13], 3
	v_mov_b32_e32 v1, 0
	v_mov_b32_e32 v4, 0
	;; [unrolled: 1-line block ×3, first 2 shown]
	v_cmp_eq_u32_e32 vcc_lo, 0, v0
	s_waitcnt lgkmcnt(0)
	s_add_u32 s16, s8, s14
	s_addc_u32 s17, s9, s15
	s_add_u32 s0, s0, s14
	s_addc_u32 s1, s1, s15
	s_load_dwordx2 s[8:9], s[4:5], 0x38
	s_load_dwordx2 s[14:15], s[0:1], 0x0
	s_ashr_i32 s7, s6, 31
	s_and_saveexec_b32 s0, vcc_lo
	s_cbranch_execz .LBB92_2
; %bb.1:
	s_lshl_b64 s[18:19], s[2:3], 4
	s_waitcnt lgkmcnt(0)
	s_mul_i32 s1, s8, s7
	s_add_u32 s13, s14, s18
	s_mul_hi_u32 s18, s8, s6
	s_addc_u32 s20, s15, s19
	s_add_i32 s1, s18, s1
	s_mul_i32 s18, s9, s6
	s_add_i32 s19, s1, s18
	s_mul_i32 s18, s8, s6
	s_lshl_b64 s[18:19], s[18:19], 4
	s_add_u32 s18, s13, s18
	s_addc_u32 s19, s20, s19
	v_mov_b32_e32 v1, s18
	v_mov_b32_e32 v2, s19
	flat_load_dwordx4 v[3:6], v[1:2]
	s_waitcnt vmcnt(0) lgkmcnt(0)
	v_add_f64 v[3:4], v[3:4], 0
	v_add_f64 v[1:2], v[5:6], 0
.LBB92_2:
	s_or_b32 exec_lo, exec_lo, s0
	s_load_dword s18, s[4:5], 0x0
	s_waitcnt lgkmcnt(0)
	v_cmp_gt_i32_e64 s0, s18, v0
	s_and_saveexec_b32 s13, s0
	s_cbranch_execz .LBB92_8
; %bb.3:
	s_load_dwordx2 s[16:17], s[16:17], 0x0
	s_load_dwordx2 s[20:21], s[4:5], 0x18
	v_mad_u64_u32 v[5:6], null, s8, v0, 0
	v_cndmask_b32_e64 v8, 0, v0, s0
	s_lshl_b64 s[0:1], s[10:11], 4
	v_mad_u64_u32 v[6:7], null, s9, v0, v[6:7]
	v_lshlrev_b32_e32 v7, 4, v8
	s_waitcnt lgkmcnt(0)
	s_add_u32 s10, s16, s0
	s_mul_i32 s11, s20, s7
	s_mul_hi_u32 s16, s20, s6
	s_mul_i32 s19, s21, s6
	s_addc_u32 s17, s17, s1
	s_add_i32 s1, s16, s11
	v_add_co_u32 v9, s10, s10, v7
	s_mul_i32 s0, s20, s6
	s_add_i32 s1, s1, s19
	v_add_co_ci_u32_e64 v10, null, s17, 0, s10
	s_lshl_b64 s[0:1], s[0:1], 4
	v_lshlrev_b64 v[7:8], 4, v[5:6]
	s_lshl_b64 s[2:3], s[2:3], 4
	v_add_co_u32 v5, s0, v9, s0
	v_add_co_ci_u32_e64 v6, null, s1, v10, s0
	s_add_u32 s0, s14, s2
	s_addc_u32 s1, s15, s3
	v_add_co_u32 v7, s0, s0, v7
	v_add_co_ci_u32_e64 v8, null, s1, v8, s0
	v_mov_b32_e32 v9, v0
	s_mov_b32 s10, 0
	s_lshl_b64 s[2:3], s[8:9], 13
	s_inst_prefetch 0x1
	s_branch .LBB92_5
	.p2align	6
.LBB92_4:                               ;   in Loop: Header=BB92_5 Depth=1
	s_or_b32 exec_lo, exec_lo, s1
	v_add_nc_u32_e32 v9, 0x200, v9
	v_add_co_u32 v7, s0, v7, s2
	v_add_co_ci_u32_e64 v8, null, s3, v8, s0
	v_cmp_le_i32_e64 s0, s18, v9
	v_add_co_u32 v5, s1, 0x2000, v5
	v_add_co_ci_u32_e64 v6, null, 0, v6, s1
	s_or_b32 s10, s0, s10
	s_andn2_b32 exec_lo, exec_lo, s10
	s_cbranch_execz .LBB92_7
.LBB92_5:                               ; =>This Inner Loop Header: Depth=1
	s_mov_b32 s1, exec_lo
	v_cmpx_lt_i32_e64 s6, v9
	s_cbranch_execz .LBB92_4
; %bb.6:                                ;   in Loop: Header=BB92_5 Depth=1
	flat_load_dwordx4 v[10:13], v[5:6]
	flat_load_dwordx4 v[14:17], v[7:8]
	s_waitcnt vmcnt(0) lgkmcnt(0)
	v_mul_f64 v[18:19], v[12:13], v[16:17]
	v_mul_f64 v[12:13], v[12:13], v[14:15]
	v_fma_f64 v[14:15], v[10:11], v[14:15], v[18:19]
	v_fma_f64 v[10:11], v[10:11], v[16:17], -v[12:13]
	v_add_f64 v[3:4], v[3:4], v[14:15]
	v_add_f64 v[1:2], v[1:2], v[10:11]
	s_branch .LBB92_4
.LBB92_7:
	s_inst_prefetch 0x2
	s_or_b32 exec_lo, exec_lo, s10
.LBB92_8:
	s_or_b32 exec_lo, exec_lo, s13
	v_and_b32_e32 v14, 31, v0
	v_cmp_gt_u32_e64 s0, 32, v0
	v_lshlrev_b32_e32 v9, 4, v14
	s_and_saveexec_b32 s1, s0
	s_cbranch_execz .LBB92_10
; %bb.9:
	v_mov_b32_e32 v5, 0
	v_mov_b32_e32 v6, v5
	;; [unrolled: 1-line block ×4, first 2 shown]
	ds_write_b128 v9, v[5:8]
.LBB92_10:
	s_or_b32 exec_lo, exec_lo, s1
	v_mbcnt_lo_u32_b32 v13, -1, 0
	s_mov_b32 s2, exec_lo
	s_waitcnt lgkmcnt(0)
	s_barrier
	buffer_gl0_inv
	v_lshl_or_b32 v8, v13, 2, 64
	v_cmp_gt_u32_e64 s1, 24, v13
	ds_bpermute_b32 v5, v8, v3
	ds_bpermute_b32 v6, v8, v4
	;; [unrolled: 1-line block ×4, first 2 shown]
	s_waitcnt lgkmcnt(2)
	v_add_f64 v[3:4], v[3:4], v[5:6]
	v_cndmask_b32_e64 v5, 0, 8, s1
	s_waitcnt lgkmcnt(0)
	v_add_f64 v[1:2], v[1:2], v[7:8]
	v_cmp_gt_u32_e64 s1, 28, v13
	v_add_lshl_u32 v10, v5, v13, 2
	ds_bpermute_b32 v5, v10, v3
	ds_bpermute_b32 v6, v10, v4
	ds_bpermute_b32 v7, v10, v1
	ds_bpermute_b32 v8, v10, v2
	s_waitcnt lgkmcnt(2)
	v_add_f64 v[3:4], v[3:4], v[5:6]
	v_cndmask_b32_e64 v5, 0, 4, s1
	s_waitcnt lgkmcnt(0)
	v_add_f64 v[1:2], v[1:2], v[7:8]
	v_cmp_gt_u32_e64 s1, 30, v13
	v_add_lshl_u32 v11, v5, v13, 2
	ds_bpermute_b32 v5, v11, v3
	ds_bpermute_b32 v6, v11, v4
	;; [unrolled: 1-line block ×4, first 2 shown]
	s_waitcnt lgkmcnt(2)
	v_add_f64 v[3:4], v[3:4], v[5:6]
	s_waitcnt lgkmcnt(0)
	v_add_f64 v[5:6], v[1:2], v[7:8]
	v_cndmask_b32_e64 v1, 0, 2, s1
	v_cmp_ne_u32_e64 s1, 31, v13
	v_add_lshl_u32 v12, v1, v13, 2
	ds_bpermute_b32 v1, v12, v3
	ds_bpermute_b32 v2, v12, v4
	;; [unrolled: 1-line block ×4, first 2 shown]
	s_waitcnt lgkmcnt(2)
	v_add_f64 v[1:2], v[3:4], v[1:2]
	s_waitcnt lgkmcnt(0)
	v_add_f64 v[3:4], v[5:6], v[7:8]
	v_add_co_ci_u32_e64 v5, null, 0, v13, s1
	v_lshlrev_b32_e32 v13, 2, v5
	ds_bpermute_b32 v5, v13, v1
	ds_bpermute_b32 v6, v13, v2
	;; [unrolled: 1-line block ×4, first 2 shown]
	v_cmpx_eq_u32_e32 0, v14
	s_cbranch_execz .LBB92_12
; %bb.11:
	s_waitcnt lgkmcnt(0)
	v_add_f64 v[3:4], v[3:4], v[7:8]
	v_add_f64 v[1:2], v[1:2], v[5:6]
	v_lshrrev_b32_e32 v5, 1, v0
	v_and_b32_e32 v5, 0xf0, v5
	ds_write_b128 v5, v[1:4]
.LBB92_12:
	s_or_b32 exec_lo, exec_lo, s2
	v_mov_b32_e32 v3, 0
	v_mov_b32_e32 v1, 0
	;; [unrolled: 1-line block ×4, first 2 shown]
	s_mov_b32 s2, exec_lo
	s_waitcnt lgkmcnt(0)
	s_barrier
	buffer_gl0_inv
	v_cmpx_gt_u32_e32 16, v0
	s_cbranch_execnz .LBB92_16
; %bb.13:
	s_or_b32 exec_lo, exec_lo, s2
	s_and_saveexec_b32 s1, s0
	s_cbranch_execnz .LBB92_17
.LBB92_14:
	s_or_b32 exec_lo, exec_lo, s1
	s_and_saveexec_b32 s0, vcc_lo
	s_cbranch_execnz .LBB92_18
.LBB92_15:
	s_endpgm
.LBB92_16:
	ds_read_b128 v[1:4], v9
	s_or_b32 exec_lo, exec_lo, s2
	s_and_saveexec_b32 s1, s0
	s_cbranch_execz .LBB92_14
.LBB92_17:
	s_waitcnt lgkmcnt(0)
	ds_bpermute_b32 v5, v10, v1
	ds_bpermute_b32 v6, v10, v2
	ds_bpermute_b32 v7, v10, v3
	ds_bpermute_b32 v8, v10, v4
	s_waitcnt lgkmcnt(2)
	v_add_f64 v[0:1], v[1:2], v[5:6]
	s_waitcnt lgkmcnt(0)
	v_add_f64 v[2:3], v[3:4], v[7:8]
	ds_bpermute_b32 v4, v11, v0
	ds_bpermute_b32 v5, v11, v1
	ds_bpermute_b32 v6, v11, v2
	ds_bpermute_b32 v7, v11, v3
	s_waitcnt lgkmcnt(2)
	v_add_f64 v[0:1], v[0:1], v[4:5]
	s_waitcnt lgkmcnt(0)
	v_add_f64 v[2:3], v[2:3], v[6:7]
	;; [unrolled: 8-line block ×4, first 2 shown]
	s_or_b32 exec_lo, exec_lo, s1
	s_and_saveexec_b32 s0, vcc_lo
	s_cbranch_execz .LBB92_15
.LBB92_18:
	s_load_dwordx4 s[0:3], s[4:5], 0x48
	v_mov_b32_e32 v0, 0
	s_waitcnt lgkmcnt(0)
	s_mul_i32 s3, s3, s12
	s_mul_hi_u32 s4, s2, s12
	s_mul_i32 s2, s2, s12
	s_add_i32 s3, s4, s3
	s_lshl_b64 s[2:3], s[2:3], 4
	s_add_u32 s2, s0, s2
	s_addc_u32 s3, s1, s3
	s_lshl_b64 s[0:1], s[6:7], 4
	s_add_u32 s0, s2, s0
	s_addc_u32 s1, s3, s1
	global_store_dwordx4 v0, v[1:4], s[0:1]
	s_endpgm
	.section	.rodata,"a",@progbits
	.p2align	6, 0x0
	.amdhsa_kernel _ZL20rocblas_trmvt_kernelILi512ELb1ELb1ELb1EPKPK19rocblas_complex_numIdEPKPS1_S6_EviT3_lllT4_lllT5_li
		.amdhsa_group_segment_fixed_size 512
		.amdhsa_private_segment_fixed_size 0
		.amdhsa_kernarg_size 92
		.amdhsa_user_sgpr_count 6
		.amdhsa_user_sgpr_private_segment_buffer 1
		.amdhsa_user_sgpr_dispatch_ptr 0
		.amdhsa_user_sgpr_queue_ptr 0
		.amdhsa_user_sgpr_kernarg_segment_ptr 1
		.amdhsa_user_sgpr_dispatch_id 0
		.amdhsa_user_sgpr_flat_scratch_init 0
		.amdhsa_user_sgpr_private_segment_size 0
		.amdhsa_wavefront_size32 1
		.amdhsa_uses_dynamic_stack 0
		.amdhsa_system_sgpr_private_segment_wavefront_offset 0
		.amdhsa_system_sgpr_workgroup_id_x 1
		.amdhsa_system_sgpr_workgroup_id_y 0
		.amdhsa_system_sgpr_workgroup_id_z 1
		.amdhsa_system_sgpr_workgroup_info 0
		.amdhsa_system_vgpr_workitem_id 0
		.amdhsa_next_free_vgpr 20
		.amdhsa_next_free_sgpr 22
		.amdhsa_reserve_vcc 1
		.amdhsa_reserve_flat_scratch 0
		.amdhsa_float_round_mode_32 0
		.amdhsa_float_round_mode_16_64 0
		.amdhsa_float_denorm_mode_32 3
		.amdhsa_float_denorm_mode_16_64 3
		.amdhsa_dx10_clamp 1
		.amdhsa_ieee_mode 1
		.amdhsa_fp16_overflow 0
		.amdhsa_workgroup_processor_mode 1
		.amdhsa_memory_ordered 1
		.amdhsa_forward_progress 1
		.amdhsa_shared_vgpr_count 0
		.amdhsa_exception_fp_ieee_invalid_op 0
		.amdhsa_exception_fp_denorm_src 0
		.amdhsa_exception_fp_ieee_div_zero 0
		.amdhsa_exception_fp_ieee_overflow 0
		.amdhsa_exception_fp_ieee_underflow 0
		.amdhsa_exception_fp_ieee_inexact 0
		.amdhsa_exception_int_div_zero 0
	.end_amdhsa_kernel
	.section	.text._ZL20rocblas_trmvt_kernelILi512ELb1ELb1ELb1EPKPK19rocblas_complex_numIdEPKPS1_S6_EviT3_lllT4_lllT5_li,"axG",@progbits,_ZL20rocblas_trmvt_kernelILi512ELb1ELb1ELb1EPKPK19rocblas_complex_numIdEPKPS1_S6_EviT3_lllT4_lllT5_li,comdat
.Lfunc_end92:
	.size	_ZL20rocblas_trmvt_kernelILi512ELb1ELb1ELb1EPKPK19rocblas_complex_numIdEPKPS1_S6_EviT3_lllT4_lllT5_li, .Lfunc_end92-_ZL20rocblas_trmvt_kernelILi512ELb1ELb1ELb1EPKPK19rocblas_complex_numIdEPKPS1_S6_EviT3_lllT4_lllT5_li
                                        ; -- End function
	.set _ZL20rocblas_trmvt_kernelILi512ELb1ELb1ELb1EPKPK19rocblas_complex_numIdEPKPS1_S6_EviT3_lllT4_lllT5_li.num_vgpr, 20
	.set _ZL20rocblas_trmvt_kernelILi512ELb1ELb1ELb1EPKPK19rocblas_complex_numIdEPKPS1_S6_EviT3_lllT4_lllT5_li.num_agpr, 0
	.set _ZL20rocblas_trmvt_kernelILi512ELb1ELb1ELb1EPKPK19rocblas_complex_numIdEPKPS1_S6_EviT3_lllT4_lllT5_li.numbered_sgpr, 22
	.set _ZL20rocblas_trmvt_kernelILi512ELb1ELb1ELb1EPKPK19rocblas_complex_numIdEPKPS1_S6_EviT3_lllT4_lllT5_li.num_named_barrier, 0
	.set _ZL20rocblas_trmvt_kernelILi512ELb1ELb1ELb1EPKPK19rocblas_complex_numIdEPKPS1_S6_EviT3_lllT4_lllT5_li.private_seg_size, 0
	.set _ZL20rocblas_trmvt_kernelILi512ELb1ELb1ELb1EPKPK19rocblas_complex_numIdEPKPS1_S6_EviT3_lllT4_lllT5_li.uses_vcc, 1
	.set _ZL20rocblas_trmvt_kernelILi512ELb1ELb1ELb1EPKPK19rocblas_complex_numIdEPKPS1_S6_EviT3_lllT4_lllT5_li.uses_flat_scratch, 0
	.set _ZL20rocblas_trmvt_kernelILi512ELb1ELb1ELb1EPKPK19rocblas_complex_numIdEPKPS1_S6_EviT3_lllT4_lllT5_li.has_dyn_sized_stack, 0
	.set _ZL20rocblas_trmvt_kernelILi512ELb1ELb1ELb1EPKPK19rocblas_complex_numIdEPKPS1_S6_EviT3_lllT4_lllT5_li.has_recursion, 0
	.set _ZL20rocblas_trmvt_kernelILi512ELb1ELb1ELb1EPKPK19rocblas_complex_numIdEPKPS1_S6_EviT3_lllT4_lllT5_li.has_indirect_call, 0
	.section	.AMDGPU.csdata,"",@progbits
; Kernel info:
; codeLenInByte = 1504
; TotalNumSgprs: 24
; NumVgprs: 20
; ScratchSize: 0
; MemoryBound: 1
; FloatMode: 240
; IeeeMode: 1
; LDSByteSize: 512 bytes/workgroup (compile time only)
; SGPRBlocks: 0
; VGPRBlocks: 2
; NumSGPRsForWavesPerEU: 24
; NumVGPRsForWavesPerEU: 20
; Occupancy: 16
; WaveLimiterHint : 1
; COMPUTE_PGM_RSRC2:SCRATCH_EN: 0
; COMPUTE_PGM_RSRC2:USER_SGPR: 6
; COMPUTE_PGM_RSRC2:TRAP_HANDLER: 0
; COMPUTE_PGM_RSRC2:TGID_X_EN: 1
; COMPUTE_PGM_RSRC2:TGID_Y_EN: 0
; COMPUTE_PGM_RSRC2:TGID_Z_EN: 1
; COMPUTE_PGM_RSRC2:TIDIG_COMP_CNT: 0
	.section	.text._ZL20rocblas_trmvn_kernelILi64ELi16ELb1ELb0EPKPK19rocblas_complex_numIdEPKPS1_S6_EviT3_lllT4_lllT5_li,"axG",@progbits,_ZL20rocblas_trmvn_kernelILi64ELi16ELb1ELb0EPKPK19rocblas_complex_numIdEPKPS1_S6_EviT3_lllT4_lllT5_li,comdat
	.globl	_ZL20rocblas_trmvn_kernelILi64ELi16ELb1ELb0EPKPK19rocblas_complex_numIdEPKPS1_S6_EviT3_lllT4_lllT5_li ; -- Begin function _ZL20rocblas_trmvn_kernelILi64ELi16ELb1ELb0EPKPK19rocblas_complex_numIdEPKPS1_S6_EviT3_lllT4_lllT5_li
	.p2align	8
	.type	_ZL20rocblas_trmvn_kernelILi64ELi16ELb1ELb0EPKPK19rocblas_complex_numIdEPKPS1_S6_EviT3_lllT4_lllT5_li,@function
_ZL20rocblas_trmvn_kernelILi64ELi16ELb1ELb0EPKPK19rocblas_complex_numIdEPKPS1_S6_EviT3_lllT4_lllT5_li: ; @_ZL20rocblas_trmvn_kernelILi64ELi16ELb1ELb0EPKPK19rocblas_complex_numIdEPKPS1_S6_EviT3_lllT4_lllT5_li
; %bb.0:
	s_clause 0x2
	s_load_dwordx4 s[0:3], s[4:5], 0x8
	s_load_dwordx4 s[8:11], s[4:5], 0x28
	s_load_dword s20, s[4:5], 0x0
	s_mov_b32 s12, s7
	s_mov_b32 s13, 0
	s_clause 0x1
	s_load_dwordx2 s[14:15], s[4:5], 0x18
	s_load_dwordx2 s[16:17], s[4:5], 0x38
	s_lshl_b64 s[18:19], s[12:13], 3
	v_lshl_add_u32 v6, s6, 6, v0
	v_mov_b32_e32 v2, 0
	v_mov_b32_e32 v3, 0
	;; [unrolled: 1-line block ×4, first 2 shown]
	s_waitcnt lgkmcnt(0)
	s_add_u32 s0, s0, s18
	s_addc_u32 s1, s1, s19
	s_add_u32 s18, s8, s18
	s_addc_u32 s19, s9, s19
	s_load_dwordx2 s[8:9], s[0:1], 0x0
	s_load_dwordx2 s[18:19], s[18:19], 0x0
	v_cmp_eq_u32_e64 s0, 0, v1
	v_cmp_gt_i32_e32 vcc_lo, s20, v6
	s_and_b32 s0, s0, vcc_lo
	s_and_saveexec_b32 s1, s0
	s_cbranch_execz .LBB93_2
; %bb.1:
	v_ashrrev_i32_e32 v7, 31, v6
	v_mul_lo_u32 v8, s17, v6
	v_mad_u64_u32 v[2:3], null, s16, v6, 0
	v_mul_lo_u32 v10, v6, s15
	v_mul_lo_u32 v9, s16, v7
	;; [unrolled: 1-line block ×3, first 2 shown]
	v_mad_u64_u32 v[4:5], null, v6, s14, v[6:7]
	s_lshl_b64 s[6:7], s[2:3], 4
	s_waitcnt lgkmcnt(0)
	s_add_u32 s13, s8, s6
	s_addc_u32 s21, s9, s7
	v_add3_u32 v3, v3, v9, v8
	s_lshl_b64 s[6:7], s[10:11], 4
	v_add3_u32 v5, v11, v5, v10
	s_add_u32 s0, s18, s6
	s_addc_u32 s6, s19, s7
	v_lshlrev_b64 v[2:3], 4, v[2:3]
	v_lshlrev_b64 v[4:5], 4, v[4:5]
	v_add_co_u32 v2, s0, s0, v2
	v_add_co_ci_u32_e64 v3, null, s6, v3, s0
	v_add_co_u32 v7, s0, s13, v4
	v_add_co_ci_u32_e64 v8, null, s21, v5, s0
	flat_load_dwordx4 v[2:5], v[2:3]
	flat_load_dwordx4 v[7:10], v[7:8]
	s_waitcnt vmcnt(0) lgkmcnt(0)
	v_mul_f64 v[11:12], v[4:5], v[9:10]
	v_mul_f64 v[9:10], v[2:3], v[9:10]
	v_fma_f64 v[2:3], v[2:3], v[7:8], -v[11:12]
	v_fma_f64 v[4:5], v[4:5], v[7:8], v[9:10]
.LBB93_2:
	s_or_b32 exec_lo, exec_lo, s1
	s_load_dword s13, s[4:5], 0x6c
	s_mov_b32 s21, exec_lo
	v_cmpx_gt_i32_e64 s20, v1
	s_cbranch_execz .LBB93_8
; %bb.3:
	v_mad_u64_u32 v[8:9], null, s14, v1, 0
	v_mad_u64_u32 v[10:11], null, s16, v1, 0
	s_lshl_b64 s[0:1], s[10:11], 4
	s_waitcnt lgkmcnt(0)
	s_add_u32 s6, s18, s0
	s_addc_u32 s7, s19, s1
	v_mov_b32_e32 v7, v9
	s_lshl_b64 s[0:1], s[2:3], 4
	s_lshl_b64 s[2:3], s[16:17], 8
	v_mad_u64_u32 v[12:13], null, s15, v1, v[7:8]
	v_mov_b32_e32 v7, v11
	v_mov_b32_e32 v9, v12
	v_mad_u64_u32 v[11:12], null, s17, v1, v[7:8]
	v_ashrrev_i32_e32 v7, 31, v6
	v_lshlrev_b64 v[8:9], 4, v[8:9]
	v_lshlrev_b64 v[12:13], 4, v[6:7]
	v_add_co_u32 v14, s0, v8, s0
	v_add_co_ci_u32_e64 v9, null, s1, v9, s0
	v_lshlrev_b64 v[7:8], 4, v[10:11]
	v_add_co_u32 v10, s0, v14, v12
	v_add_co_ci_u32_e64 v11, null, v9, v13, s0
	v_add_co_u32 v7, s0, s6, v7
	v_add_co_ci_u32_e64 v8, null, s7, v8, s0
	;; [unrolled: 2-line block ×3, first 2 shown]
	v_mov_b32_e32 v11, v1
	s_lshl_b64 s[6:7], s[14:15], 8
	s_mov_b32 s8, 0
	s_inst_prefetch 0x1
	s_branch .LBB93_5
	.p2align	6
.LBB93_4:                               ;   in Loop: Header=BB93_5 Depth=1
	s_or_b32 exec_lo, exec_lo, s0
	v_add_nc_u32_e32 v11, 16, v11
	v_add_co_u32 v7, s0, v7, s2
	v_add_co_ci_u32_e64 v8, null, s3, v8, s0
	v_cmp_le_i32_e64 s0, s20, v11
	v_add_co_u32 v9, s1, v9, s6
	v_add_co_ci_u32_e64 v10, null, s7, v10, s1
	s_or_b32 s8, s0, s8
	s_andn2_b32 exec_lo, exec_lo, s8
	s_cbranch_execz .LBB93_7
.LBB93_5:                               ; =>This Inner Loop Header: Depth=1
	v_cmp_lt_i32_e64 s0, v11, v6
	s_and_b32 s1, vcc_lo, s0
	s_and_saveexec_b32 s0, s1
	s_cbranch_execz .LBB93_4
; %bb.6:                                ;   in Loop: Header=BB93_5 Depth=1
	flat_load_dwordx4 v[12:15], v[7:8]
	flat_load_dwordx4 v[16:19], v[9:10]
	s_waitcnt vmcnt(0) lgkmcnt(0)
	v_mul_f64 v[20:21], v[14:15], v[18:19]
	v_mul_f64 v[18:19], v[12:13], v[18:19]
	v_fma_f64 v[12:13], v[12:13], v[16:17], -v[20:21]
	v_fma_f64 v[14:15], v[14:15], v[16:17], v[18:19]
	v_add_f64 v[2:3], v[2:3], v[12:13]
	v_add_f64 v[4:5], v[4:5], v[14:15]
	s_branch .LBB93_4
.LBB93_7:
	s_inst_prefetch 0x2
	s_or_b32 exec_lo, exec_lo, s8
.LBB93_8:
	s_or_b32 exec_lo, exec_lo, s21
	v_lshlrev_b32_e32 v7, 4, v0
	s_waitcnt lgkmcnt(0)
	s_and_b32 s1, 0xffff, s13
	s_mov_b32 s2, exec_lo
	v_mad_u32_u24 v0, v1, s1, v0
	v_lshl_add_u32 v8, v1, 10, v7
	ds_write_b128 v8, v[2:5]
	s_waitcnt lgkmcnt(0)
	s_barrier
	buffer_gl0_inv
	v_cmpx_gt_u32_e32 64, v0
	s_cbranch_execz .LBB93_11
; %bb.9:
	v_mul_u32_u24_e32 v0, s1, v1
	v_lshl_add_u32 v0, v0, 4, v7
	ds_read_b128 v[1:4], v0
	ds_read_b128 v[7:10], v0 offset:1024
	s_waitcnt lgkmcnt(0)
	v_add_f64 v[11:12], v[1:2], v[7:8]
	v_add_f64 v[13:14], v[3:4], v[9:10]
	ds_read_b128 v[1:4], v0 offset:2048
	ds_read_b128 v[7:10], v0 offset:3072
	s_waitcnt lgkmcnt(1)
	v_add_f64 v[1:2], v[11:12], v[1:2]
	v_add_f64 v[3:4], v[13:14], v[3:4]
	s_waitcnt lgkmcnt(0)
	v_add_f64 v[11:12], v[1:2], v[7:8]
	v_add_f64 v[13:14], v[3:4], v[9:10]
	ds_read_b128 v[1:4], v0 offset:4096
	ds_read_b128 v[7:10], v0 offset:5120
	s_waitcnt lgkmcnt(1)
	v_add_f64 v[1:2], v[11:12], v[1:2]
	v_add_f64 v[3:4], v[13:14], v[3:4]
	s_waitcnt lgkmcnt(0)
	v_add_f64 v[11:12], v[1:2], v[7:8]
	v_add_f64 v[13:14], v[3:4], v[9:10]
	ds_read_b128 v[1:4], v0 offset:6144
	ds_read_b128 v[7:10], v0 offset:7168
	s_waitcnt lgkmcnt(1)
	v_add_f64 v[1:2], v[11:12], v[1:2]
	v_add_f64 v[3:4], v[13:14], v[3:4]
	s_waitcnt lgkmcnt(0)
	v_add_f64 v[11:12], v[1:2], v[7:8]
	v_add_f64 v[13:14], v[3:4], v[9:10]
	ds_read_b128 v[1:4], v0 offset:8192
	ds_read_b128 v[7:10], v0 offset:9216
	s_waitcnt lgkmcnt(1)
	v_add_f64 v[1:2], v[11:12], v[1:2]
	v_add_f64 v[3:4], v[13:14], v[3:4]
	s_waitcnt lgkmcnt(0)
	v_add_f64 v[11:12], v[1:2], v[7:8]
	v_add_f64 v[13:14], v[3:4], v[9:10]
	ds_read_b128 v[1:4], v0 offset:10240
	ds_read_b128 v[7:10], v0 offset:11264
	s_waitcnt lgkmcnt(1)
	v_add_f64 v[1:2], v[11:12], v[1:2]
	v_add_f64 v[3:4], v[13:14], v[3:4]
	s_waitcnt lgkmcnt(0)
	v_add_f64 v[11:12], v[1:2], v[7:8]
	v_add_f64 v[13:14], v[3:4], v[9:10]
	ds_read_b128 v[1:4], v0 offset:12288
	ds_read_b128 v[7:10], v0 offset:13312
	s_waitcnt lgkmcnt(1)
	v_add_f64 v[1:2], v[11:12], v[1:2]
	v_add_f64 v[3:4], v[13:14], v[3:4]
	s_waitcnt lgkmcnt(0)
	v_add_f64 v[11:12], v[1:2], v[7:8]
	v_add_f64 v[13:14], v[3:4], v[9:10]
	ds_read_b128 v[1:4], v0 offset:14336
	ds_read_b128 v[7:10], v0 offset:15360
	s_waitcnt lgkmcnt(1)
	v_add_f64 v[1:2], v[11:12], v[1:2]
	v_add_f64 v[3:4], v[13:14], v[3:4]
	s_waitcnt lgkmcnt(0)
	v_add_f64 v[1:2], v[1:2], v[7:8]
	v_add_f64 v[3:4], v[3:4], v[9:10]
	ds_write_b128 v0, v[1:4]
	s_and_b32 exec_lo, exec_lo, vcc_lo
	s_cbranch_execz .LBB93_11
; %bb.10:
	s_load_dwordx4 s[0:3], s[4:5], 0x48
	ds_read2_b64 v[0:3], v0 offset1:1
	v_ashrrev_i32_e32 v7, 31, v6
	v_lshlrev_b64 v[4:5], 4, v[6:7]
	s_waitcnt lgkmcnt(0)
	s_mul_i32 s3, s3, s12
	s_mul_hi_u32 s4, s2, s12
	s_mul_i32 s2, s2, s12
	s_add_i32 s3, s4, s3
	s_lshl_b64 s[2:3], s[2:3], 4
	s_add_u32 s0, s0, s2
	s_addc_u32 s1, s1, s3
	v_add_co_u32 v4, vcc_lo, s0, v4
	v_add_co_ci_u32_e64 v5, null, s1, v5, vcc_lo
	global_store_dwordx4 v[4:5], v[0:3], off
.LBB93_11:
	s_endpgm
	.section	.rodata,"a",@progbits
	.p2align	6, 0x0
	.amdhsa_kernel _ZL20rocblas_trmvn_kernelILi64ELi16ELb1ELb0EPKPK19rocblas_complex_numIdEPKPS1_S6_EviT3_lllT4_lllT5_li
		.amdhsa_group_segment_fixed_size 16384
		.amdhsa_private_segment_fixed_size 0
		.amdhsa_kernarg_size 352
		.amdhsa_user_sgpr_count 6
		.amdhsa_user_sgpr_private_segment_buffer 1
		.amdhsa_user_sgpr_dispatch_ptr 0
		.amdhsa_user_sgpr_queue_ptr 0
		.amdhsa_user_sgpr_kernarg_segment_ptr 1
		.amdhsa_user_sgpr_dispatch_id 0
		.amdhsa_user_sgpr_flat_scratch_init 0
		.amdhsa_user_sgpr_private_segment_size 0
		.amdhsa_wavefront_size32 1
		.amdhsa_uses_dynamic_stack 0
		.amdhsa_system_sgpr_private_segment_wavefront_offset 0
		.amdhsa_system_sgpr_workgroup_id_x 1
		.amdhsa_system_sgpr_workgroup_id_y 0
		.amdhsa_system_sgpr_workgroup_id_z 1
		.amdhsa_system_sgpr_workgroup_info 0
		.amdhsa_system_vgpr_workitem_id 1
		.amdhsa_next_free_vgpr 22
		.amdhsa_next_free_sgpr 22
		.amdhsa_reserve_vcc 1
		.amdhsa_reserve_flat_scratch 0
		.amdhsa_float_round_mode_32 0
		.amdhsa_float_round_mode_16_64 0
		.amdhsa_float_denorm_mode_32 3
		.amdhsa_float_denorm_mode_16_64 3
		.amdhsa_dx10_clamp 1
		.amdhsa_ieee_mode 1
		.amdhsa_fp16_overflow 0
		.amdhsa_workgroup_processor_mode 1
		.amdhsa_memory_ordered 1
		.amdhsa_forward_progress 1
		.amdhsa_shared_vgpr_count 0
		.amdhsa_exception_fp_ieee_invalid_op 0
		.amdhsa_exception_fp_denorm_src 0
		.amdhsa_exception_fp_ieee_div_zero 0
		.amdhsa_exception_fp_ieee_overflow 0
		.amdhsa_exception_fp_ieee_underflow 0
		.amdhsa_exception_fp_ieee_inexact 0
		.amdhsa_exception_int_div_zero 0
	.end_amdhsa_kernel
	.section	.text._ZL20rocblas_trmvn_kernelILi64ELi16ELb1ELb0EPKPK19rocblas_complex_numIdEPKPS1_S6_EviT3_lllT4_lllT5_li,"axG",@progbits,_ZL20rocblas_trmvn_kernelILi64ELi16ELb1ELb0EPKPK19rocblas_complex_numIdEPKPS1_S6_EviT3_lllT4_lllT5_li,comdat
.Lfunc_end93:
	.size	_ZL20rocblas_trmvn_kernelILi64ELi16ELb1ELb0EPKPK19rocblas_complex_numIdEPKPS1_S6_EviT3_lllT4_lllT5_li, .Lfunc_end93-_ZL20rocblas_trmvn_kernelILi64ELi16ELb1ELb0EPKPK19rocblas_complex_numIdEPKPS1_S6_EviT3_lllT4_lllT5_li
                                        ; -- End function
	.set _ZL20rocblas_trmvn_kernelILi64ELi16ELb1ELb0EPKPK19rocblas_complex_numIdEPKPS1_S6_EviT3_lllT4_lllT5_li.num_vgpr, 22
	.set _ZL20rocblas_trmvn_kernelILi64ELi16ELb1ELb0EPKPK19rocblas_complex_numIdEPKPS1_S6_EviT3_lllT4_lllT5_li.num_agpr, 0
	.set _ZL20rocblas_trmvn_kernelILi64ELi16ELb1ELb0EPKPK19rocblas_complex_numIdEPKPS1_S6_EviT3_lllT4_lllT5_li.numbered_sgpr, 22
	.set _ZL20rocblas_trmvn_kernelILi64ELi16ELb1ELb0EPKPK19rocblas_complex_numIdEPKPS1_S6_EviT3_lllT4_lllT5_li.num_named_barrier, 0
	.set _ZL20rocblas_trmvn_kernelILi64ELi16ELb1ELb0EPKPK19rocblas_complex_numIdEPKPS1_S6_EviT3_lllT4_lllT5_li.private_seg_size, 0
	.set _ZL20rocblas_trmvn_kernelILi64ELi16ELb1ELb0EPKPK19rocblas_complex_numIdEPKPS1_S6_EviT3_lllT4_lllT5_li.uses_vcc, 1
	.set _ZL20rocblas_trmvn_kernelILi64ELi16ELb1ELb0EPKPK19rocblas_complex_numIdEPKPS1_S6_EviT3_lllT4_lllT5_li.uses_flat_scratch, 0
	.set _ZL20rocblas_trmvn_kernelILi64ELi16ELb1ELb0EPKPK19rocblas_complex_numIdEPKPS1_S6_EviT3_lllT4_lllT5_li.has_dyn_sized_stack, 0
	.set _ZL20rocblas_trmvn_kernelILi64ELi16ELb1ELb0EPKPK19rocblas_complex_numIdEPKPS1_S6_EviT3_lllT4_lllT5_li.has_recursion, 0
	.set _ZL20rocblas_trmvn_kernelILi64ELi16ELb1ELb0EPKPK19rocblas_complex_numIdEPKPS1_S6_EviT3_lllT4_lllT5_li.has_indirect_call, 0
	.section	.AMDGPU.csdata,"",@progbits
; Kernel info:
; codeLenInByte = 1352
; TotalNumSgprs: 24
; NumVgprs: 22
; ScratchSize: 0
; MemoryBound: 1
; FloatMode: 240
; IeeeMode: 1
; LDSByteSize: 16384 bytes/workgroup (compile time only)
; SGPRBlocks: 0
; VGPRBlocks: 2
; NumSGPRsForWavesPerEU: 24
; NumVGPRsForWavesPerEU: 22
; Occupancy: 16
; WaveLimiterHint : 1
; COMPUTE_PGM_RSRC2:SCRATCH_EN: 0
; COMPUTE_PGM_RSRC2:USER_SGPR: 6
; COMPUTE_PGM_RSRC2:TRAP_HANDLER: 0
; COMPUTE_PGM_RSRC2:TGID_X_EN: 1
; COMPUTE_PGM_RSRC2:TGID_Y_EN: 0
; COMPUTE_PGM_RSRC2:TGID_Z_EN: 1
; COMPUTE_PGM_RSRC2:TIDIG_COMP_CNT: 1
	.section	.text._ZL20rocblas_trmvt_kernelILi512ELb1ELb0ELb0EPKPK19rocblas_complex_numIdEPKPS1_S6_EviT3_lllT4_lllT5_li,"axG",@progbits,_ZL20rocblas_trmvt_kernelILi512ELb1ELb0ELb0EPKPK19rocblas_complex_numIdEPKPS1_S6_EviT3_lllT4_lllT5_li,comdat
	.globl	_ZL20rocblas_trmvt_kernelILi512ELb1ELb0ELb0EPKPK19rocblas_complex_numIdEPKPS1_S6_EviT3_lllT4_lllT5_li ; -- Begin function _ZL20rocblas_trmvt_kernelILi512ELb1ELb0ELb0EPKPK19rocblas_complex_numIdEPKPS1_S6_EviT3_lllT4_lllT5_li
	.p2align	8
	.type	_ZL20rocblas_trmvt_kernelILi512ELb1ELb0ELb0EPKPK19rocblas_complex_numIdEPKPS1_S6_EviT3_lllT4_lllT5_li,@function
_ZL20rocblas_trmvt_kernelILi512ELb1ELb0ELb0EPKPK19rocblas_complex_numIdEPKPS1_S6_EviT3_lllT4_lllT5_li: ; @_ZL20rocblas_trmvt_kernelILi512ELb1ELb0ELb0EPKPK19rocblas_complex_numIdEPKPS1_S6_EviT3_lllT4_lllT5_li
; %bb.0:
	s_clause 0x1
	s_load_dwordx4 s[16:19], s[4:5], 0x8
	s_load_dword s14, s[4:5], 0x0
	s_mov_b32 s2, s7
	s_mov_b32 s3, 0
	s_load_dwordx2 s[22:23], s[4:5], 0x18
	s_lshl_b64 s[20:21], s[2:3], 3
	v_mov_b32_e32 v5, 0
	v_mov_b32_e32 v3, 0
	;; [unrolled: 1-line block ×4, first 2 shown]
	s_waitcnt lgkmcnt(0)
	s_add_u32 s0, s16, s20
	s_addc_u32 s1, s17, s21
	s_lshl_b64 s[18:19], s[18:19], 4
	s_load_dwordx2 s[16:17], s[0:1], 0x0
	s_clause 0x1
	s_load_dwordx4 s[8:11], s[4:5], 0x28
	s_load_dwordx2 s[12:13], s[4:5], 0x38
	v_cmp_gt_i32_e64 s0, s14, v0
	s_mul_hi_u32 s1, s22, s6
	s_mul_i32 s3, s23, s6
	v_cndmask_b32_e64 v1, 0, v0, s0
	v_lshlrev_b32_e32 v1, 4, v1
	s_waitcnt lgkmcnt(0)
	s_add_u32 s15, s16, s18
	s_addc_u32 s18, s17, s19
	s_add_u32 s8, s8, s20
	s_addc_u32 s9, s9, s21
	s_ashr_i32 s7, s6, 31
	s_load_dwordx2 s[8:9], s[8:9], 0x0
	s_mul_i32 s16, s22, s7
	s_add_i32 s1, s1, s16
	s_mul_i32 s16, s22, s6
	s_add_i32 s17, s1, s3
	v_add_co_u32 v1, s1, s15, v1
	v_add_co_ci_u32_e64 v2, null, s18, 0, s1
	s_lshl_b64 s[16:17], s[16:17], 4
	v_add_co_u32 v1, vcc_lo, v1, s16
	v_add_co_ci_u32_e64 v2, null, s17, v2, vcc_lo
	v_cmp_eq_u32_e32 vcc_lo, 0, v0
	s_and_saveexec_b32 s3, vcc_lo
	s_cbranch_execz .LBB94_2
; %bb.1:
	s_lshl_b64 s[16:17], s[10:11], 4
	s_mul_i32 s1, s12, s7
	s_waitcnt lgkmcnt(0)
	s_add_u32 s15, s8, s16
	s_mul_hi_u32 s16, s12, s6
	s_addc_u32 s20, s9, s17
	s_add_i32 s1, s16, s1
	s_mul_i32 s16, s13, s6
	s_lshl_b64 s[18:19], s[6:7], 4
	s_add_i32 s17, s1, s16
	s_mul_i32 s16, s12, s6
	v_add_co_u32 v3, s1, v1, s18
	s_lshl_b64 s[16:17], s[16:17], 4
	v_add_co_ci_u32_e64 v4, null, s19, v2, s1
	s_add_u32 s16, s15, s16
	s_addc_u32 s17, s20, s17
	v_mov_b32_e32 v7, s16
	v_mov_b32_e32 v8, s17
	flat_load_dwordx4 v[3:6], v[3:4]
	flat_load_dwordx4 v[7:10], v[7:8]
	s_waitcnt vmcnt(0) lgkmcnt(0)
	v_mul_f64 v[11:12], v[5:6], v[9:10]
	v_mul_f64 v[9:10], v[3:4], v[9:10]
	v_fma_f64 v[3:4], v[3:4], v[7:8], -v[11:12]
	v_fma_f64 v[7:8], v[5:6], v[7:8], v[9:10]
	v_add_f64 v[5:6], v[3:4], 0
	v_add_f64 v[3:4], v[7:8], 0
.LBB94_2:
	s_or_b32 exec_lo, exec_lo, s3
	s_and_saveexec_b32 s3, s0
	s_cbranch_execz .LBB94_8
; %bb.3:
	v_mad_u64_u32 v[7:8], null, s12, v0, 0
	s_lshl_b64 s[0:1], s[10:11], 4
	s_mov_b32 s10, 0
	s_waitcnt lgkmcnt(0)
	s_add_u32 s0, s8, s0
	s_addc_u32 s1, s9, s1
	s_lshl_b64 s[8:9], s[12:13], 13
	v_mad_u64_u32 v[8:9], null, s13, v0, v[8:9]
	v_mov_b32_e32 v9, v0
	v_lshlrev_b64 v[7:8], 4, v[7:8]
	v_add_co_u32 v7, s0, s0, v7
	v_add_co_ci_u32_e64 v8, null, s1, v8, s0
	s_inst_prefetch 0x1
	s_branch .LBB94_5
	.p2align	6
.LBB94_4:                               ;   in Loop: Header=BB94_5 Depth=1
	s_or_b32 exec_lo, exec_lo, s1
	v_add_nc_u32_e32 v9, 0x200, v9
	v_add_co_u32 v7, s0, v7, s8
	v_add_co_ci_u32_e64 v8, null, s9, v8, s0
	v_cmp_le_i32_e64 s0, s14, v9
	v_add_co_u32 v1, s1, 0x2000, v1
	v_add_co_ci_u32_e64 v2, null, 0, v2, s1
	s_or_b32 s10, s0, s10
	s_andn2_b32 exec_lo, exec_lo, s10
	s_cbranch_execz .LBB94_7
.LBB94_5:                               ; =>This Inner Loop Header: Depth=1
	s_mov_b32 s1, exec_lo
	v_cmpx_lt_i32_e64 s6, v9
	s_cbranch_execz .LBB94_4
; %bb.6:                                ;   in Loop: Header=BB94_5 Depth=1
	flat_load_dwordx4 v[10:13], v[1:2]
	flat_load_dwordx4 v[14:17], v[7:8]
	s_waitcnt vmcnt(0) lgkmcnt(0)
	v_mul_f64 v[18:19], v[12:13], v[16:17]
	v_mul_f64 v[16:17], v[10:11], v[16:17]
	v_fma_f64 v[10:11], v[10:11], v[14:15], -v[18:19]
	v_fma_f64 v[12:13], v[12:13], v[14:15], v[16:17]
	v_add_f64 v[5:6], v[5:6], v[10:11]
	v_add_f64 v[3:4], v[3:4], v[12:13]
	s_branch .LBB94_4
.LBB94_7:
	s_inst_prefetch 0x2
	s_or_b32 exec_lo, exec_lo, s10
.LBB94_8:
	s_or_b32 exec_lo, exec_lo, s3
	v_and_b32_e32 v14, 31, v0
	v_cmp_gt_u32_e64 s0, 32, v0
	v_lshlrev_b32_e32 v9, 4, v14
	s_and_saveexec_b32 s1, s0
	s_cbranch_execz .LBB94_10
; %bb.9:
	v_mov_b32_e32 v10, 0
	v_mov_b32_e32 v11, v10
	;; [unrolled: 1-line block ×4, first 2 shown]
	ds_write_b128 v9, v[10:13]
.LBB94_10:
	s_or_b32 exec_lo, exec_lo, s1
	v_mbcnt_lo_u32_b32 v13, -1, 0
	s_mov_b32 s3, exec_lo
	s_waitcnt lgkmcnt(0)
	s_barrier
	buffer_gl0_inv
	v_lshl_or_b32 v8, v13, 2, 64
	v_cmp_gt_u32_e64 s1, 24, v13
	ds_bpermute_b32 v1, v8, v5
	ds_bpermute_b32 v2, v8, v6
	;; [unrolled: 1-line block ×4, first 2 shown]
	s_waitcnt lgkmcnt(2)
	v_add_f64 v[1:2], v[5:6], v[1:2]
	v_cndmask_b32_e64 v5, 0, 8, s1
	s_waitcnt lgkmcnt(0)
	v_add_f64 v[3:4], v[3:4], v[7:8]
	v_cmp_gt_u32_e64 s1, 28, v13
	v_add_lshl_u32 v10, v5, v13, 2
	ds_bpermute_b32 v5, v10, v1
	ds_bpermute_b32 v6, v10, v2
	;; [unrolled: 1-line block ×4, first 2 shown]
	s_waitcnt lgkmcnt(2)
	v_add_f64 v[1:2], v[1:2], v[5:6]
	v_cndmask_b32_e64 v5, 0, 4, s1
	s_waitcnt lgkmcnt(0)
	v_add_f64 v[3:4], v[3:4], v[7:8]
	v_cmp_gt_u32_e64 s1, 30, v13
	v_add_lshl_u32 v11, v5, v13, 2
	ds_bpermute_b32 v5, v11, v1
	ds_bpermute_b32 v6, v11, v2
	;; [unrolled: 1-line block ×4, first 2 shown]
	s_waitcnt lgkmcnt(2)
	v_add_f64 v[1:2], v[1:2], v[5:6]
	v_cndmask_b32_e64 v5, 0, 2, s1
	s_waitcnt lgkmcnt(0)
	v_add_f64 v[3:4], v[3:4], v[7:8]
	v_cmp_ne_u32_e64 s1, 31, v13
	v_add_lshl_u32 v12, v5, v13, 2
	ds_bpermute_b32 v5, v12, v1
	ds_bpermute_b32 v6, v12, v2
	;; [unrolled: 1-line block ×4, first 2 shown]
	s_waitcnt lgkmcnt(2)
	v_add_f64 v[1:2], v[1:2], v[5:6]
	v_add_co_ci_u32_e64 v5, null, 0, v13, s1
	s_waitcnt lgkmcnt(0)
	v_add_f64 v[3:4], v[3:4], v[7:8]
	v_lshlrev_b32_e32 v13, 2, v5
	ds_bpermute_b32 v5, v13, v1
	ds_bpermute_b32 v6, v13, v2
	;; [unrolled: 1-line block ×4, first 2 shown]
	v_cmpx_eq_u32_e32 0, v14
	s_cbranch_execz .LBB94_12
; %bb.11:
	s_waitcnt lgkmcnt(0)
	v_add_f64 v[3:4], v[3:4], v[7:8]
	v_add_f64 v[1:2], v[1:2], v[5:6]
	v_lshrrev_b32_e32 v5, 1, v0
	v_and_b32_e32 v5, 0xf0, v5
	ds_write_b128 v5, v[1:4]
.LBB94_12:
	s_or_b32 exec_lo, exec_lo, s3
	v_mov_b32_e32 v3, 0
	v_mov_b32_e32 v1, 0
	;; [unrolled: 1-line block ×4, first 2 shown]
	s_mov_b32 s3, exec_lo
	s_waitcnt lgkmcnt(0)
	s_barrier
	buffer_gl0_inv
	v_cmpx_gt_u32_e32 16, v0
	s_cbranch_execnz .LBB94_16
; %bb.13:
	s_or_b32 exec_lo, exec_lo, s3
	s_and_saveexec_b32 s1, s0
	s_cbranch_execnz .LBB94_17
.LBB94_14:
	s_or_b32 exec_lo, exec_lo, s1
	s_and_saveexec_b32 s0, vcc_lo
	s_cbranch_execnz .LBB94_18
.LBB94_15:
	s_endpgm
.LBB94_16:
	ds_read_b128 v[1:4], v9
	s_or_b32 exec_lo, exec_lo, s3
	s_and_saveexec_b32 s1, s0
	s_cbranch_execz .LBB94_14
.LBB94_17:
	s_waitcnt lgkmcnt(0)
	ds_bpermute_b32 v5, v10, v1
	ds_bpermute_b32 v6, v10, v2
	ds_bpermute_b32 v7, v10, v3
	ds_bpermute_b32 v8, v10, v4
	s_waitcnt lgkmcnt(2)
	v_add_f64 v[0:1], v[1:2], v[5:6]
	s_waitcnt lgkmcnt(0)
	v_add_f64 v[2:3], v[3:4], v[7:8]
	ds_bpermute_b32 v4, v11, v0
	ds_bpermute_b32 v5, v11, v1
	ds_bpermute_b32 v6, v11, v2
	ds_bpermute_b32 v7, v11, v3
	s_waitcnt lgkmcnt(2)
	v_add_f64 v[0:1], v[0:1], v[4:5]
	s_waitcnt lgkmcnt(0)
	v_add_f64 v[2:3], v[2:3], v[6:7]
	;; [unrolled: 8-line block ×4, first 2 shown]
	s_or_b32 exec_lo, exec_lo, s1
	s_and_saveexec_b32 s0, vcc_lo
	s_cbranch_execz .LBB94_15
.LBB94_18:
	s_load_dwordx4 s[8:11], s[4:5], 0x48
	v_mov_b32_e32 v0, 0
	s_waitcnt lgkmcnt(0)
	s_mul_i32 s1, s11, s2
	s_mul_hi_u32 s3, s10, s2
	s_mul_i32 s0, s10, s2
	s_add_i32 s1, s3, s1
	s_lshl_b64 s[0:1], s[0:1], 4
	s_add_u32 s2, s8, s0
	s_addc_u32 s3, s9, s1
	s_lshl_b64 s[0:1], s[6:7], 4
	s_add_u32 s0, s2, s0
	s_addc_u32 s1, s3, s1
	global_store_dwordx4 v0, v[1:4], s[0:1]
	s_endpgm
	.section	.rodata,"a",@progbits
	.p2align	6, 0x0
	.amdhsa_kernel _ZL20rocblas_trmvt_kernelILi512ELb1ELb0ELb0EPKPK19rocblas_complex_numIdEPKPS1_S6_EviT3_lllT4_lllT5_li
		.amdhsa_group_segment_fixed_size 512
		.amdhsa_private_segment_fixed_size 0
		.amdhsa_kernarg_size 92
		.amdhsa_user_sgpr_count 6
		.amdhsa_user_sgpr_private_segment_buffer 1
		.amdhsa_user_sgpr_dispatch_ptr 0
		.amdhsa_user_sgpr_queue_ptr 0
		.amdhsa_user_sgpr_kernarg_segment_ptr 1
		.amdhsa_user_sgpr_dispatch_id 0
		.amdhsa_user_sgpr_flat_scratch_init 0
		.amdhsa_user_sgpr_private_segment_size 0
		.amdhsa_wavefront_size32 1
		.amdhsa_uses_dynamic_stack 0
		.amdhsa_system_sgpr_private_segment_wavefront_offset 0
		.amdhsa_system_sgpr_workgroup_id_x 1
		.amdhsa_system_sgpr_workgroup_id_y 0
		.amdhsa_system_sgpr_workgroup_id_z 1
		.amdhsa_system_sgpr_workgroup_info 0
		.amdhsa_system_vgpr_workitem_id 0
		.amdhsa_next_free_vgpr 20
		.amdhsa_next_free_sgpr 24
		.amdhsa_reserve_vcc 1
		.amdhsa_reserve_flat_scratch 0
		.amdhsa_float_round_mode_32 0
		.amdhsa_float_round_mode_16_64 0
		.amdhsa_float_denorm_mode_32 3
		.amdhsa_float_denorm_mode_16_64 3
		.amdhsa_dx10_clamp 1
		.amdhsa_ieee_mode 1
		.amdhsa_fp16_overflow 0
		.amdhsa_workgroup_processor_mode 1
		.amdhsa_memory_ordered 1
		.amdhsa_forward_progress 1
		.amdhsa_shared_vgpr_count 0
		.amdhsa_exception_fp_ieee_invalid_op 0
		.amdhsa_exception_fp_denorm_src 0
		.amdhsa_exception_fp_ieee_div_zero 0
		.amdhsa_exception_fp_ieee_overflow 0
		.amdhsa_exception_fp_ieee_underflow 0
		.amdhsa_exception_fp_ieee_inexact 0
		.amdhsa_exception_int_div_zero 0
	.end_amdhsa_kernel
	.section	.text._ZL20rocblas_trmvt_kernelILi512ELb1ELb0ELb0EPKPK19rocblas_complex_numIdEPKPS1_S6_EviT3_lllT4_lllT5_li,"axG",@progbits,_ZL20rocblas_trmvt_kernelILi512ELb1ELb0ELb0EPKPK19rocblas_complex_numIdEPKPS1_S6_EviT3_lllT4_lllT5_li,comdat
.Lfunc_end94:
	.size	_ZL20rocblas_trmvt_kernelILi512ELb1ELb0ELb0EPKPK19rocblas_complex_numIdEPKPS1_S6_EviT3_lllT4_lllT5_li, .Lfunc_end94-_ZL20rocblas_trmvt_kernelILi512ELb1ELb0ELb0EPKPK19rocblas_complex_numIdEPKPS1_S6_EviT3_lllT4_lllT5_li
                                        ; -- End function
	.set _ZL20rocblas_trmvt_kernelILi512ELb1ELb0ELb0EPKPK19rocblas_complex_numIdEPKPS1_S6_EviT3_lllT4_lllT5_li.num_vgpr, 20
	.set _ZL20rocblas_trmvt_kernelILi512ELb1ELb0ELb0EPKPK19rocblas_complex_numIdEPKPS1_S6_EviT3_lllT4_lllT5_li.num_agpr, 0
	.set _ZL20rocblas_trmvt_kernelILi512ELb1ELb0ELb0EPKPK19rocblas_complex_numIdEPKPS1_S6_EviT3_lllT4_lllT5_li.numbered_sgpr, 24
	.set _ZL20rocblas_trmvt_kernelILi512ELb1ELb0ELb0EPKPK19rocblas_complex_numIdEPKPS1_S6_EviT3_lllT4_lllT5_li.num_named_barrier, 0
	.set _ZL20rocblas_trmvt_kernelILi512ELb1ELb0ELb0EPKPK19rocblas_complex_numIdEPKPS1_S6_EviT3_lllT4_lllT5_li.private_seg_size, 0
	.set _ZL20rocblas_trmvt_kernelILi512ELb1ELb0ELb0EPKPK19rocblas_complex_numIdEPKPS1_S6_EviT3_lllT4_lllT5_li.uses_vcc, 1
	.set _ZL20rocblas_trmvt_kernelILi512ELb1ELb0ELb0EPKPK19rocblas_complex_numIdEPKPS1_S6_EviT3_lllT4_lllT5_li.uses_flat_scratch, 0
	.set _ZL20rocblas_trmvt_kernelILi512ELb1ELb0ELb0EPKPK19rocblas_complex_numIdEPKPS1_S6_EviT3_lllT4_lllT5_li.has_dyn_sized_stack, 0
	.set _ZL20rocblas_trmvt_kernelILi512ELb1ELb0ELb0EPKPK19rocblas_complex_numIdEPKPS1_S6_EviT3_lllT4_lllT5_li.has_recursion, 0
	.set _ZL20rocblas_trmvt_kernelILi512ELb1ELb0ELb0EPKPK19rocblas_complex_numIdEPKPS1_S6_EviT3_lllT4_lllT5_li.has_indirect_call, 0
	.section	.AMDGPU.csdata,"",@progbits
; Kernel info:
; codeLenInByte = 1568
; TotalNumSgprs: 26
; NumVgprs: 20
; ScratchSize: 0
; MemoryBound: 1
; FloatMode: 240
; IeeeMode: 1
; LDSByteSize: 512 bytes/workgroup (compile time only)
; SGPRBlocks: 0
; VGPRBlocks: 2
; NumSGPRsForWavesPerEU: 26
; NumVGPRsForWavesPerEU: 20
; Occupancy: 16
; WaveLimiterHint : 1
; COMPUTE_PGM_RSRC2:SCRATCH_EN: 0
; COMPUTE_PGM_RSRC2:USER_SGPR: 6
; COMPUTE_PGM_RSRC2:TRAP_HANDLER: 0
; COMPUTE_PGM_RSRC2:TGID_X_EN: 1
; COMPUTE_PGM_RSRC2:TGID_Y_EN: 0
; COMPUTE_PGM_RSRC2:TGID_Z_EN: 1
; COMPUTE_PGM_RSRC2:TIDIG_COMP_CNT: 0
	.section	.text._ZL20rocblas_trmvt_kernelILi512ELb1ELb1ELb0EPKPK19rocblas_complex_numIdEPKPS1_S6_EviT3_lllT4_lllT5_li,"axG",@progbits,_ZL20rocblas_trmvt_kernelILi512ELb1ELb1ELb0EPKPK19rocblas_complex_numIdEPKPS1_S6_EviT3_lllT4_lllT5_li,comdat
	.globl	_ZL20rocblas_trmvt_kernelILi512ELb1ELb1ELb0EPKPK19rocblas_complex_numIdEPKPS1_S6_EviT3_lllT4_lllT5_li ; -- Begin function _ZL20rocblas_trmvt_kernelILi512ELb1ELb1ELb0EPKPK19rocblas_complex_numIdEPKPS1_S6_EviT3_lllT4_lllT5_li
	.p2align	8
	.type	_ZL20rocblas_trmvt_kernelILi512ELb1ELb1ELb0EPKPK19rocblas_complex_numIdEPKPS1_S6_EviT3_lllT4_lllT5_li,@function
_ZL20rocblas_trmvt_kernelILi512ELb1ELb1ELb0EPKPK19rocblas_complex_numIdEPKPS1_S6_EviT3_lllT4_lllT5_li: ; @_ZL20rocblas_trmvt_kernelILi512ELb1ELb1ELb0EPKPK19rocblas_complex_numIdEPKPS1_S6_EviT3_lllT4_lllT5_li
; %bb.0:
	s_clause 0x1
	s_load_dwordx4 s[16:19], s[4:5], 0x8
	s_load_dword s14, s[4:5], 0x0
	s_mov_b32 s2, s7
	s_mov_b32 s3, 0
	s_load_dwordx2 s[22:23], s[4:5], 0x18
	s_lshl_b64 s[20:21], s[2:3], 3
	v_mov_b32_e32 v5, 0
	v_mov_b32_e32 v3, 0
	;; [unrolled: 1-line block ×4, first 2 shown]
	s_waitcnt lgkmcnt(0)
	s_add_u32 s0, s16, s20
	s_addc_u32 s1, s17, s21
	s_lshl_b64 s[18:19], s[18:19], 4
	s_load_dwordx2 s[16:17], s[0:1], 0x0
	s_clause 0x1
	s_load_dwordx4 s[8:11], s[4:5], 0x28
	s_load_dwordx2 s[12:13], s[4:5], 0x38
	v_cmp_gt_i32_e64 s0, s14, v0
	s_mul_hi_u32 s1, s22, s6
	s_mul_i32 s3, s23, s6
	v_cndmask_b32_e64 v1, 0, v0, s0
	v_lshlrev_b32_e32 v1, 4, v1
	s_waitcnt lgkmcnt(0)
	s_add_u32 s15, s16, s18
	s_addc_u32 s18, s17, s19
	s_add_u32 s8, s8, s20
	s_addc_u32 s9, s9, s21
	s_ashr_i32 s7, s6, 31
	s_load_dwordx2 s[8:9], s[8:9], 0x0
	s_mul_i32 s16, s22, s7
	s_add_i32 s1, s1, s16
	s_mul_i32 s16, s22, s6
	s_add_i32 s17, s1, s3
	v_add_co_u32 v1, s1, s15, v1
	v_add_co_ci_u32_e64 v2, null, s18, 0, s1
	s_lshl_b64 s[16:17], s[16:17], 4
	v_add_co_u32 v1, vcc_lo, v1, s16
	v_add_co_ci_u32_e64 v2, null, s17, v2, vcc_lo
	v_cmp_eq_u32_e32 vcc_lo, 0, v0
	s_and_saveexec_b32 s3, vcc_lo
	s_cbranch_execz .LBB95_2
; %bb.1:
	s_lshl_b64 s[16:17], s[10:11], 4
	s_mul_i32 s1, s12, s7
	s_waitcnt lgkmcnt(0)
	s_add_u32 s15, s8, s16
	s_mul_hi_u32 s16, s12, s6
	s_addc_u32 s20, s9, s17
	s_add_i32 s1, s16, s1
	s_mul_i32 s16, s13, s6
	s_lshl_b64 s[18:19], s[6:7], 4
	s_add_i32 s17, s1, s16
	s_mul_i32 s16, s12, s6
	v_add_co_u32 v3, s1, v1, s18
	s_lshl_b64 s[16:17], s[16:17], 4
	v_add_co_ci_u32_e64 v4, null, s19, v2, s1
	s_add_u32 s16, s15, s16
	s_addc_u32 s17, s20, s17
	v_mov_b32_e32 v7, s16
	v_mov_b32_e32 v8, s17
	flat_load_dwordx4 v[3:6], v[3:4]
	flat_load_dwordx4 v[7:10], v[7:8]
	s_waitcnt vmcnt(0) lgkmcnt(0)
	v_mul_f64 v[11:12], v[5:6], v[9:10]
	v_mul_f64 v[5:6], v[5:6], v[7:8]
	v_fma_f64 v[7:8], v[3:4], v[7:8], v[11:12]
	v_fma_f64 v[3:4], v[3:4], v[9:10], -v[5:6]
	v_add_f64 v[5:6], v[7:8], 0
	v_add_f64 v[3:4], v[3:4], 0
.LBB95_2:
	s_or_b32 exec_lo, exec_lo, s3
	s_and_saveexec_b32 s3, s0
	s_cbranch_execz .LBB95_8
; %bb.3:
	v_mad_u64_u32 v[7:8], null, s12, v0, 0
	s_lshl_b64 s[0:1], s[10:11], 4
	s_mov_b32 s10, 0
	s_waitcnt lgkmcnt(0)
	s_add_u32 s0, s8, s0
	s_addc_u32 s1, s9, s1
	s_lshl_b64 s[8:9], s[12:13], 13
	v_mad_u64_u32 v[8:9], null, s13, v0, v[8:9]
	v_mov_b32_e32 v9, v0
	v_lshlrev_b64 v[7:8], 4, v[7:8]
	v_add_co_u32 v7, s0, s0, v7
	v_add_co_ci_u32_e64 v8, null, s1, v8, s0
	s_inst_prefetch 0x1
	s_branch .LBB95_5
	.p2align	6
.LBB95_4:                               ;   in Loop: Header=BB95_5 Depth=1
	s_or_b32 exec_lo, exec_lo, s1
	v_add_nc_u32_e32 v9, 0x200, v9
	v_add_co_u32 v7, s0, v7, s8
	v_add_co_ci_u32_e64 v8, null, s9, v8, s0
	v_cmp_le_i32_e64 s0, s14, v9
	v_add_co_u32 v1, s1, 0x2000, v1
	v_add_co_ci_u32_e64 v2, null, 0, v2, s1
	s_or_b32 s10, s0, s10
	s_andn2_b32 exec_lo, exec_lo, s10
	s_cbranch_execz .LBB95_7
.LBB95_5:                               ; =>This Inner Loop Header: Depth=1
	s_mov_b32 s1, exec_lo
	v_cmpx_lt_i32_e64 s6, v9
	s_cbranch_execz .LBB95_4
; %bb.6:                                ;   in Loop: Header=BB95_5 Depth=1
	flat_load_dwordx4 v[10:13], v[1:2]
	flat_load_dwordx4 v[14:17], v[7:8]
	s_waitcnt vmcnt(0) lgkmcnt(0)
	v_mul_f64 v[18:19], v[12:13], v[16:17]
	v_mul_f64 v[12:13], v[12:13], v[14:15]
	v_fma_f64 v[14:15], v[10:11], v[14:15], v[18:19]
	v_fma_f64 v[10:11], v[10:11], v[16:17], -v[12:13]
	v_add_f64 v[5:6], v[5:6], v[14:15]
	v_add_f64 v[3:4], v[3:4], v[10:11]
	s_branch .LBB95_4
.LBB95_7:
	s_inst_prefetch 0x2
	s_or_b32 exec_lo, exec_lo, s10
.LBB95_8:
	s_or_b32 exec_lo, exec_lo, s3
	v_and_b32_e32 v14, 31, v0
	v_cmp_gt_u32_e64 s0, 32, v0
	v_lshlrev_b32_e32 v9, 4, v14
	s_and_saveexec_b32 s1, s0
	s_cbranch_execz .LBB95_10
; %bb.9:
	v_mov_b32_e32 v10, 0
	v_mov_b32_e32 v11, v10
	;; [unrolled: 1-line block ×4, first 2 shown]
	ds_write_b128 v9, v[10:13]
.LBB95_10:
	s_or_b32 exec_lo, exec_lo, s1
	v_mbcnt_lo_u32_b32 v13, -1, 0
	s_mov_b32 s3, exec_lo
	s_waitcnt lgkmcnt(0)
	s_barrier
	buffer_gl0_inv
	v_lshl_or_b32 v8, v13, 2, 64
	v_cmp_gt_u32_e64 s1, 24, v13
	ds_bpermute_b32 v1, v8, v5
	ds_bpermute_b32 v2, v8, v6
	;; [unrolled: 1-line block ×4, first 2 shown]
	s_waitcnt lgkmcnt(2)
	v_add_f64 v[1:2], v[5:6], v[1:2]
	v_cndmask_b32_e64 v5, 0, 8, s1
	s_waitcnt lgkmcnt(0)
	v_add_f64 v[3:4], v[3:4], v[7:8]
	v_cmp_gt_u32_e64 s1, 28, v13
	v_add_lshl_u32 v10, v5, v13, 2
	ds_bpermute_b32 v5, v10, v1
	ds_bpermute_b32 v6, v10, v2
	;; [unrolled: 1-line block ×4, first 2 shown]
	s_waitcnt lgkmcnt(2)
	v_add_f64 v[1:2], v[1:2], v[5:6]
	v_cndmask_b32_e64 v5, 0, 4, s1
	s_waitcnt lgkmcnt(0)
	v_add_f64 v[3:4], v[3:4], v[7:8]
	v_cmp_gt_u32_e64 s1, 30, v13
	v_add_lshl_u32 v11, v5, v13, 2
	ds_bpermute_b32 v5, v11, v1
	ds_bpermute_b32 v6, v11, v2
	;; [unrolled: 1-line block ×4, first 2 shown]
	s_waitcnt lgkmcnt(2)
	v_add_f64 v[1:2], v[1:2], v[5:6]
	v_cndmask_b32_e64 v5, 0, 2, s1
	s_waitcnt lgkmcnt(0)
	v_add_f64 v[3:4], v[3:4], v[7:8]
	v_cmp_ne_u32_e64 s1, 31, v13
	v_add_lshl_u32 v12, v5, v13, 2
	ds_bpermute_b32 v5, v12, v1
	ds_bpermute_b32 v6, v12, v2
	;; [unrolled: 1-line block ×4, first 2 shown]
	s_waitcnt lgkmcnt(2)
	v_add_f64 v[1:2], v[1:2], v[5:6]
	v_add_co_ci_u32_e64 v5, null, 0, v13, s1
	s_waitcnt lgkmcnt(0)
	v_add_f64 v[3:4], v[3:4], v[7:8]
	v_lshlrev_b32_e32 v13, 2, v5
	ds_bpermute_b32 v5, v13, v1
	ds_bpermute_b32 v6, v13, v2
	;; [unrolled: 1-line block ×4, first 2 shown]
	v_cmpx_eq_u32_e32 0, v14
	s_cbranch_execz .LBB95_12
; %bb.11:
	s_waitcnt lgkmcnt(0)
	v_add_f64 v[3:4], v[3:4], v[7:8]
	v_add_f64 v[1:2], v[1:2], v[5:6]
	v_lshrrev_b32_e32 v5, 1, v0
	v_and_b32_e32 v5, 0xf0, v5
	ds_write_b128 v5, v[1:4]
.LBB95_12:
	s_or_b32 exec_lo, exec_lo, s3
	v_mov_b32_e32 v3, 0
	v_mov_b32_e32 v1, 0
	;; [unrolled: 1-line block ×4, first 2 shown]
	s_mov_b32 s3, exec_lo
	s_waitcnt lgkmcnt(0)
	s_barrier
	buffer_gl0_inv
	v_cmpx_gt_u32_e32 16, v0
	s_cbranch_execnz .LBB95_16
; %bb.13:
	s_or_b32 exec_lo, exec_lo, s3
	s_and_saveexec_b32 s1, s0
	s_cbranch_execnz .LBB95_17
.LBB95_14:
	s_or_b32 exec_lo, exec_lo, s1
	s_and_saveexec_b32 s0, vcc_lo
	s_cbranch_execnz .LBB95_18
.LBB95_15:
	s_endpgm
.LBB95_16:
	ds_read_b128 v[1:4], v9
	s_or_b32 exec_lo, exec_lo, s3
	s_and_saveexec_b32 s1, s0
	s_cbranch_execz .LBB95_14
.LBB95_17:
	s_waitcnt lgkmcnt(0)
	ds_bpermute_b32 v5, v10, v1
	ds_bpermute_b32 v6, v10, v2
	ds_bpermute_b32 v7, v10, v3
	ds_bpermute_b32 v8, v10, v4
	s_waitcnt lgkmcnt(2)
	v_add_f64 v[0:1], v[1:2], v[5:6]
	s_waitcnt lgkmcnt(0)
	v_add_f64 v[2:3], v[3:4], v[7:8]
	ds_bpermute_b32 v4, v11, v0
	ds_bpermute_b32 v5, v11, v1
	ds_bpermute_b32 v6, v11, v2
	ds_bpermute_b32 v7, v11, v3
	s_waitcnt lgkmcnt(2)
	v_add_f64 v[0:1], v[0:1], v[4:5]
	s_waitcnt lgkmcnt(0)
	v_add_f64 v[2:3], v[2:3], v[6:7]
	;; [unrolled: 8-line block ×4, first 2 shown]
	s_or_b32 exec_lo, exec_lo, s1
	s_and_saveexec_b32 s0, vcc_lo
	s_cbranch_execz .LBB95_15
.LBB95_18:
	s_load_dwordx4 s[8:11], s[4:5], 0x48
	v_mov_b32_e32 v0, 0
	s_waitcnt lgkmcnt(0)
	s_mul_i32 s1, s11, s2
	s_mul_hi_u32 s3, s10, s2
	s_mul_i32 s0, s10, s2
	s_add_i32 s1, s3, s1
	s_lshl_b64 s[0:1], s[0:1], 4
	s_add_u32 s2, s8, s0
	s_addc_u32 s3, s9, s1
	s_lshl_b64 s[0:1], s[6:7], 4
	s_add_u32 s0, s2, s0
	s_addc_u32 s1, s3, s1
	global_store_dwordx4 v0, v[1:4], s[0:1]
	s_endpgm
	.section	.rodata,"a",@progbits
	.p2align	6, 0x0
	.amdhsa_kernel _ZL20rocblas_trmvt_kernelILi512ELb1ELb1ELb0EPKPK19rocblas_complex_numIdEPKPS1_S6_EviT3_lllT4_lllT5_li
		.amdhsa_group_segment_fixed_size 512
		.amdhsa_private_segment_fixed_size 0
		.amdhsa_kernarg_size 92
		.amdhsa_user_sgpr_count 6
		.amdhsa_user_sgpr_private_segment_buffer 1
		.amdhsa_user_sgpr_dispatch_ptr 0
		.amdhsa_user_sgpr_queue_ptr 0
		.amdhsa_user_sgpr_kernarg_segment_ptr 1
		.amdhsa_user_sgpr_dispatch_id 0
		.amdhsa_user_sgpr_flat_scratch_init 0
		.amdhsa_user_sgpr_private_segment_size 0
		.amdhsa_wavefront_size32 1
		.amdhsa_uses_dynamic_stack 0
		.amdhsa_system_sgpr_private_segment_wavefront_offset 0
		.amdhsa_system_sgpr_workgroup_id_x 1
		.amdhsa_system_sgpr_workgroup_id_y 0
		.amdhsa_system_sgpr_workgroup_id_z 1
		.amdhsa_system_sgpr_workgroup_info 0
		.amdhsa_system_vgpr_workitem_id 0
		.amdhsa_next_free_vgpr 20
		.amdhsa_next_free_sgpr 24
		.amdhsa_reserve_vcc 1
		.amdhsa_reserve_flat_scratch 0
		.amdhsa_float_round_mode_32 0
		.amdhsa_float_round_mode_16_64 0
		.amdhsa_float_denorm_mode_32 3
		.amdhsa_float_denorm_mode_16_64 3
		.amdhsa_dx10_clamp 1
		.amdhsa_ieee_mode 1
		.amdhsa_fp16_overflow 0
		.amdhsa_workgroup_processor_mode 1
		.amdhsa_memory_ordered 1
		.amdhsa_forward_progress 1
		.amdhsa_shared_vgpr_count 0
		.amdhsa_exception_fp_ieee_invalid_op 0
		.amdhsa_exception_fp_denorm_src 0
		.amdhsa_exception_fp_ieee_div_zero 0
		.amdhsa_exception_fp_ieee_overflow 0
		.amdhsa_exception_fp_ieee_underflow 0
		.amdhsa_exception_fp_ieee_inexact 0
		.amdhsa_exception_int_div_zero 0
	.end_amdhsa_kernel
	.section	.text._ZL20rocblas_trmvt_kernelILi512ELb1ELb1ELb0EPKPK19rocblas_complex_numIdEPKPS1_S6_EviT3_lllT4_lllT5_li,"axG",@progbits,_ZL20rocblas_trmvt_kernelILi512ELb1ELb1ELb0EPKPK19rocblas_complex_numIdEPKPS1_S6_EviT3_lllT4_lllT5_li,comdat
.Lfunc_end95:
	.size	_ZL20rocblas_trmvt_kernelILi512ELb1ELb1ELb0EPKPK19rocblas_complex_numIdEPKPS1_S6_EviT3_lllT4_lllT5_li, .Lfunc_end95-_ZL20rocblas_trmvt_kernelILi512ELb1ELb1ELb0EPKPK19rocblas_complex_numIdEPKPS1_S6_EviT3_lllT4_lllT5_li
                                        ; -- End function
	.set _ZL20rocblas_trmvt_kernelILi512ELb1ELb1ELb0EPKPK19rocblas_complex_numIdEPKPS1_S6_EviT3_lllT4_lllT5_li.num_vgpr, 20
	.set _ZL20rocblas_trmvt_kernelILi512ELb1ELb1ELb0EPKPK19rocblas_complex_numIdEPKPS1_S6_EviT3_lllT4_lllT5_li.num_agpr, 0
	.set _ZL20rocblas_trmvt_kernelILi512ELb1ELb1ELb0EPKPK19rocblas_complex_numIdEPKPS1_S6_EviT3_lllT4_lllT5_li.numbered_sgpr, 24
	.set _ZL20rocblas_trmvt_kernelILi512ELb1ELb1ELb0EPKPK19rocblas_complex_numIdEPKPS1_S6_EviT3_lllT4_lllT5_li.num_named_barrier, 0
	.set _ZL20rocblas_trmvt_kernelILi512ELb1ELb1ELb0EPKPK19rocblas_complex_numIdEPKPS1_S6_EviT3_lllT4_lllT5_li.private_seg_size, 0
	.set _ZL20rocblas_trmvt_kernelILi512ELb1ELb1ELb0EPKPK19rocblas_complex_numIdEPKPS1_S6_EviT3_lllT4_lllT5_li.uses_vcc, 1
	.set _ZL20rocblas_trmvt_kernelILi512ELb1ELb1ELb0EPKPK19rocblas_complex_numIdEPKPS1_S6_EviT3_lllT4_lllT5_li.uses_flat_scratch, 0
	.set _ZL20rocblas_trmvt_kernelILi512ELb1ELb1ELb0EPKPK19rocblas_complex_numIdEPKPS1_S6_EviT3_lllT4_lllT5_li.has_dyn_sized_stack, 0
	.set _ZL20rocblas_trmvt_kernelILi512ELb1ELb1ELb0EPKPK19rocblas_complex_numIdEPKPS1_S6_EviT3_lllT4_lllT5_li.has_recursion, 0
	.set _ZL20rocblas_trmvt_kernelILi512ELb1ELb1ELb0EPKPK19rocblas_complex_numIdEPKPS1_S6_EviT3_lllT4_lllT5_li.has_indirect_call, 0
	.section	.AMDGPU.csdata,"",@progbits
; Kernel info:
; codeLenInByte = 1568
; TotalNumSgprs: 26
; NumVgprs: 20
; ScratchSize: 0
; MemoryBound: 1
; FloatMode: 240
; IeeeMode: 1
; LDSByteSize: 512 bytes/workgroup (compile time only)
; SGPRBlocks: 0
; VGPRBlocks: 2
; NumSGPRsForWavesPerEU: 26
; NumVGPRsForWavesPerEU: 20
; Occupancy: 16
; WaveLimiterHint : 1
; COMPUTE_PGM_RSRC2:SCRATCH_EN: 0
; COMPUTE_PGM_RSRC2:USER_SGPR: 6
; COMPUTE_PGM_RSRC2:TRAP_HANDLER: 0
; COMPUTE_PGM_RSRC2:TGID_X_EN: 1
; COMPUTE_PGM_RSRC2:TGID_Y_EN: 0
; COMPUTE_PGM_RSRC2:TGID_Z_EN: 1
; COMPUTE_PGM_RSRC2:TIDIG_COMP_CNT: 0
	.section	.AMDGPU.gpr_maximums,"",@progbits
	.set amdgpu.max_num_vgpr, 0
	.set amdgpu.max_num_agpr, 0
	.set amdgpu.max_num_sgpr, 0
	.section	.AMDGPU.csdata,"",@progbits
	.type	__hip_cuid_370f4434d91ee525,@object ; @__hip_cuid_370f4434d91ee525
	.section	.bss,"aw",@nobits
	.globl	__hip_cuid_370f4434d91ee525
__hip_cuid_370f4434d91ee525:
	.byte	0                               ; 0x0
	.size	__hip_cuid_370f4434d91ee525, 1

	.ident	"AMD clang version 22.0.0git (https://github.com/RadeonOpenCompute/llvm-project roc-7.2.4 26084 f58b06dce1f9c15707c5f808fd002e18c2accf7e)"
	.section	".note.GNU-stack","",@progbits
	.addrsig
	.addrsig_sym __hip_cuid_370f4434d91ee525
	.amdgpu_metadata
---
amdhsa.kernels:
  - .args:
      - .offset:         0
        .size:           4
        .value_kind:     by_value
      - .address_space:  global
        .offset:         8
        .size:           8
        .value_kind:     global_buffer
      - .offset:         16
        .size:           8
        .value_kind:     by_value
      - .offset:         24
        .size:           8
        .value_kind:     by_value
      - .offset:         32
        .size:           8
        .value_kind:     by_value
      - .address_space:  global
        .offset:         40
        .size:           8
        .value_kind:     global_buffer
      - .offset:         48
        .size:           8
        .value_kind:     by_value
      - .offset:         56
        .size:           8
        .value_kind:     by_value
      - .offset:         64
        .size:           8
        .value_kind:     by_value
      - .address_space:  global
        .offset:         72
        .size:           8
        .value_kind:     global_buffer
      - .offset:         80
        .size:           8
        .value_kind:     by_value
      - .offset:         88
        .size:           4
        .value_kind:     by_value
      - .offset:         96
        .size:           4
        .value_kind:     hidden_block_count_x
      - .offset:         100
        .size:           4
        .value_kind:     hidden_block_count_y
      - .offset:         104
        .size:           4
        .value_kind:     hidden_block_count_z
      - .offset:         108
        .size:           2
        .value_kind:     hidden_group_size_x
      - .offset:         110
        .size:           2
        .value_kind:     hidden_group_size_y
      - .offset:         112
        .size:           2
        .value_kind:     hidden_group_size_z
      - .offset:         114
        .size:           2
        .value_kind:     hidden_remainder_x
      - .offset:         116
        .size:           2
        .value_kind:     hidden_remainder_y
      - .offset:         118
        .size:           2
        .value_kind:     hidden_remainder_z
      - .offset:         136
        .size:           8
        .value_kind:     hidden_global_offset_x
      - .offset:         144
        .size:           8
        .value_kind:     hidden_global_offset_y
      - .offset:         152
        .size:           8
        .value_kind:     hidden_global_offset_z
      - .offset:         160
        .size:           2
        .value_kind:     hidden_grid_dims
    .group_segment_fixed_size: 4096
    .kernarg_segment_align: 8
    .kernarg_segment_size: 352
    .language:       OpenCL C
    .language_version:
      - 2
      - 0
    .max_flat_workgroup_size: 1024
    .name:           _ZL20rocblas_trmvn_kernelILi64ELi16ELb0ELb1EPKfPfS2_EviT3_lllT4_lllT5_li
    .private_segment_fixed_size: 0
    .sgpr_count:     27
    .sgpr_spill_count: 0
    .symbol:         _ZL20rocblas_trmvn_kernelILi64ELi16ELb0ELb1EPKfPfS2_EviT3_lllT4_lllT5_li.kd
    .uniform_work_group_size: 1
    .uses_dynamic_stack: false
    .vgpr_count:     12
    .vgpr_spill_count: 0
    .wavefront_size: 32
    .workgroup_processor_mode: 1
  - .args:
      - .offset:         0
        .size:           4
        .value_kind:     by_value
      - .address_space:  global
        .offset:         8
        .size:           8
        .value_kind:     global_buffer
      - .offset:         16
        .size:           8
        .value_kind:     by_value
      - .offset:         24
        .size:           8
        .value_kind:     by_value
      - .offset:         32
        .size:           8
        .value_kind:     by_value
      - .address_space:  global
        .offset:         40
        .size:           8
        .value_kind:     global_buffer
      - .offset:         48
        .size:           8
        .value_kind:     by_value
      - .offset:         56
        .size:           8
        .value_kind:     by_value
      - .offset:         64
        .size:           8
        .value_kind:     by_value
      - .address_space:  global
        .offset:         72
        .size:           8
        .value_kind:     global_buffer
      - .offset:         80
        .size:           8
        .value_kind:     by_value
      - .offset:         88
        .size:           4
        .value_kind:     by_value
    .group_segment_fixed_size: 128
    .kernarg_segment_align: 8
    .kernarg_segment_size: 92
    .language:       OpenCL C
    .language_version:
      - 2
      - 0
    .max_flat_workgroup_size: 512
    .name:           _ZL20rocblas_trmvt_kernelILi512ELb0ELb0ELb1EPKfPfS2_EviT3_lllT4_lllT5_li
    .private_segment_fixed_size: 0
    .sgpr_count:     29
    .sgpr_spill_count: 0
    .symbol:         _ZL20rocblas_trmvt_kernelILi512ELb0ELb0ELb1EPKfPfS2_EviT3_lllT4_lllT5_li.kd
    .uniform_work_group_size: 1
    .uses_dynamic_stack: false
    .vgpr_count:     10
    .vgpr_spill_count: 0
    .wavefront_size: 32
    .workgroup_processor_mode: 1
  - .args:
      - .offset:         0
        .size:           4
        .value_kind:     by_value
      - .address_space:  global
        .offset:         8
        .size:           8
        .value_kind:     global_buffer
      - .offset:         16
        .size:           8
        .value_kind:     by_value
      - .offset:         24
        .size:           8
        .value_kind:     by_value
      - .offset:         32
        .size:           8
        .value_kind:     by_value
      - .address_space:  global
        .offset:         40
        .size:           8
        .value_kind:     global_buffer
      - .offset:         48
        .size:           8
        .value_kind:     by_value
      - .offset:         56
        .size:           8
        .value_kind:     by_value
      - .offset:         64
        .size:           8
        .value_kind:     by_value
      - .address_space:  global
        .offset:         72
        .size:           8
        .value_kind:     global_buffer
      - .offset:         80
        .size:           8
        .value_kind:     by_value
      - .offset:         88
        .size:           4
        .value_kind:     by_value
    .group_segment_fixed_size: 128
    .kernarg_segment_align: 8
    .kernarg_segment_size: 92
    .language:       OpenCL C
    .language_version:
      - 2
      - 0
    .max_flat_workgroup_size: 512
    .name:           _ZL20rocblas_trmvt_kernelILi512ELb0ELb1ELb1EPKfPfS2_EviT3_lllT4_lllT5_li
    .private_segment_fixed_size: 0
    .sgpr_count:     29
    .sgpr_spill_count: 0
    .symbol:         _ZL20rocblas_trmvt_kernelILi512ELb0ELb1ELb1EPKfPfS2_EviT3_lllT4_lllT5_li.kd
    .uniform_work_group_size: 1
    .uses_dynamic_stack: false
    .vgpr_count:     10
    .vgpr_spill_count: 0
    .wavefront_size: 32
    .workgroup_processor_mode: 1
  - .args:
      - .offset:         0
        .size:           4
        .value_kind:     by_value
      - .address_space:  global
        .offset:         8
        .size:           8
        .value_kind:     global_buffer
      - .offset:         16
        .size:           8
        .value_kind:     by_value
      - .offset:         24
        .size:           8
        .value_kind:     by_value
      - .offset:         32
        .size:           8
        .value_kind:     by_value
      - .address_space:  global
        .offset:         40
        .size:           8
        .value_kind:     global_buffer
      - .offset:         48
        .size:           8
        .value_kind:     by_value
      - .offset:         56
        .size:           8
        .value_kind:     by_value
      - .offset:         64
        .size:           8
        .value_kind:     by_value
      - .address_space:  global
        .offset:         72
        .size:           8
        .value_kind:     global_buffer
      - .offset:         80
        .size:           8
        .value_kind:     by_value
      - .offset:         88
        .size:           4
        .value_kind:     by_value
      - .offset:         96
        .size:           4
        .value_kind:     hidden_block_count_x
      - .offset:         100
        .size:           4
        .value_kind:     hidden_block_count_y
      - .offset:         104
        .size:           4
        .value_kind:     hidden_block_count_z
      - .offset:         108
        .size:           2
        .value_kind:     hidden_group_size_x
      - .offset:         110
        .size:           2
        .value_kind:     hidden_group_size_y
      - .offset:         112
        .size:           2
        .value_kind:     hidden_group_size_z
      - .offset:         114
        .size:           2
        .value_kind:     hidden_remainder_x
      - .offset:         116
        .size:           2
        .value_kind:     hidden_remainder_y
      - .offset:         118
        .size:           2
        .value_kind:     hidden_remainder_z
      - .offset:         136
        .size:           8
        .value_kind:     hidden_global_offset_x
      - .offset:         144
        .size:           8
        .value_kind:     hidden_global_offset_y
      - .offset:         152
        .size:           8
        .value_kind:     hidden_global_offset_z
      - .offset:         160
        .size:           2
        .value_kind:     hidden_grid_dims
    .group_segment_fixed_size: 4096
    .kernarg_segment_align: 8
    .kernarg_segment_size: 352
    .language:       OpenCL C
    .language_version:
      - 2
      - 0
    .max_flat_workgroup_size: 1024
    .name:           _ZL20rocblas_trmvn_kernelILi64ELi16ELb0ELb0EPKfPfS2_EviT3_lllT4_lllT5_li
    .private_segment_fixed_size: 0
    .sgpr_count:     29
    .sgpr_spill_count: 0
    .symbol:         _ZL20rocblas_trmvn_kernelILi64ELi16ELb0ELb0EPKfPfS2_EviT3_lllT4_lllT5_li.kd
    .uniform_work_group_size: 1
    .uses_dynamic_stack: false
    .vgpr_count:     12
    .vgpr_spill_count: 0
    .wavefront_size: 32
    .workgroup_processor_mode: 1
  - .args:
      - .offset:         0
        .size:           4
        .value_kind:     by_value
      - .address_space:  global
        .offset:         8
        .size:           8
        .value_kind:     global_buffer
      - .offset:         16
        .size:           8
        .value_kind:     by_value
      - .offset:         24
        .size:           8
        .value_kind:     by_value
      - .offset:         32
        .size:           8
        .value_kind:     by_value
      - .address_space:  global
        .offset:         40
        .size:           8
        .value_kind:     global_buffer
      - .offset:         48
        .size:           8
        .value_kind:     by_value
      - .offset:         56
        .size:           8
        .value_kind:     by_value
      - .offset:         64
        .size:           8
        .value_kind:     by_value
      - .address_space:  global
        .offset:         72
        .size:           8
        .value_kind:     global_buffer
      - .offset:         80
        .size:           8
        .value_kind:     by_value
      - .offset:         88
        .size:           4
        .value_kind:     by_value
    .group_segment_fixed_size: 128
    .kernarg_segment_align: 8
    .kernarg_segment_size: 92
    .language:       OpenCL C
    .language_version:
      - 2
      - 0
    .max_flat_workgroup_size: 512
    .name:           _ZL20rocblas_trmvt_kernelILi512ELb0ELb0ELb0EPKfPfS2_EviT3_lllT4_lllT5_li
    .private_segment_fixed_size: 0
    .sgpr_count:     26
    .sgpr_spill_count: 0
    .symbol:         _ZL20rocblas_trmvt_kernelILi512ELb0ELb0ELb0EPKfPfS2_EviT3_lllT4_lllT5_li.kd
    .uniform_work_group_size: 1
    .uses_dynamic_stack: false
    .vgpr_count:     10
    .vgpr_spill_count: 0
    .wavefront_size: 32
    .workgroup_processor_mode: 1
  - .args:
      - .offset:         0
        .size:           4
        .value_kind:     by_value
      - .address_space:  global
        .offset:         8
        .size:           8
        .value_kind:     global_buffer
      - .offset:         16
        .size:           8
        .value_kind:     by_value
      - .offset:         24
        .size:           8
        .value_kind:     by_value
      - .offset:         32
        .size:           8
        .value_kind:     by_value
      - .address_space:  global
        .offset:         40
        .size:           8
        .value_kind:     global_buffer
      - .offset:         48
        .size:           8
        .value_kind:     by_value
      - .offset:         56
        .size:           8
        .value_kind:     by_value
      - .offset:         64
        .size:           8
        .value_kind:     by_value
      - .address_space:  global
        .offset:         72
        .size:           8
        .value_kind:     global_buffer
      - .offset:         80
        .size:           8
        .value_kind:     by_value
      - .offset:         88
        .size:           4
        .value_kind:     by_value
    .group_segment_fixed_size: 128
    .kernarg_segment_align: 8
    .kernarg_segment_size: 92
    .language:       OpenCL C
    .language_version:
      - 2
      - 0
    .max_flat_workgroup_size: 512
    .name:           _ZL20rocblas_trmvt_kernelILi512ELb0ELb1ELb0EPKfPfS2_EviT3_lllT4_lllT5_li
    .private_segment_fixed_size: 0
    .sgpr_count:     26
    .sgpr_spill_count: 0
    .symbol:         _ZL20rocblas_trmvt_kernelILi512ELb0ELb1ELb0EPKfPfS2_EviT3_lllT4_lllT5_li.kd
    .uniform_work_group_size: 1
    .uses_dynamic_stack: false
    .vgpr_count:     10
    .vgpr_spill_count: 0
    .wavefront_size: 32
    .workgroup_processor_mode: 1
  - .args:
      - .offset:         0
        .size:           4
        .value_kind:     by_value
      - .address_space:  global
        .offset:         8
        .size:           8
        .value_kind:     global_buffer
      - .offset:         16
        .size:           8
        .value_kind:     by_value
      - .offset:         24
        .size:           8
        .value_kind:     by_value
      - .offset:         32
        .size:           8
        .value_kind:     by_value
      - .address_space:  global
        .offset:         40
        .size:           8
        .value_kind:     global_buffer
      - .offset:         48
        .size:           8
        .value_kind:     by_value
      - .offset:         56
        .size:           8
        .value_kind:     by_value
      - .offset:         64
        .size:           8
        .value_kind:     by_value
      - .address_space:  global
        .offset:         72
        .size:           8
        .value_kind:     global_buffer
      - .offset:         80
        .size:           8
        .value_kind:     by_value
      - .offset:         88
        .size:           4
        .value_kind:     by_value
      - .offset:         96
        .size:           4
        .value_kind:     hidden_block_count_x
      - .offset:         100
        .size:           4
        .value_kind:     hidden_block_count_y
      - .offset:         104
        .size:           4
        .value_kind:     hidden_block_count_z
      - .offset:         108
        .size:           2
        .value_kind:     hidden_group_size_x
      - .offset:         110
        .size:           2
        .value_kind:     hidden_group_size_y
      - .offset:         112
        .size:           2
        .value_kind:     hidden_group_size_z
      - .offset:         114
        .size:           2
        .value_kind:     hidden_remainder_x
      - .offset:         116
        .size:           2
        .value_kind:     hidden_remainder_y
      - .offset:         118
        .size:           2
        .value_kind:     hidden_remainder_z
      - .offset:         136
        .size:           8
        .value_kind:     hidden_global_offset_x
      - .offset:         144
        .size:           8
        .value_kind:     hidden_global_offset_y
      - .offset:         152
        .size:           8
        .value_kind:     hidden_global_offset_z
      - .offset:         160
        .size:           2
        .value_kind:     hidden_grid_dims
    .group_segment_fixed_size: 4096
    .kernarg_segment_align: 8
    .kernarg_segment_size: 352
    .language:       OpenCL C
    .language_version:
      - 2
      - 0
    .max_flat_workgroup_size: 1024
    .name:           _ZL20rocblas_trmvn_kernelILi64ELi16ELb1ELb1EPKfPfS2_EviT3_lllT4_lllT5_li
    .private_segment_fixed_size: 0
    .sgpr_count:     27
    .sgpr_spill_count: 0
    .symbol:         _ZL20rocblas_trmvn_kernelILi64ELi16ELb1ELb1EPKfPfS2_EviT3_lllT4_lllT5_li.kd
    .uniform_work_group_size: 1
    .uses_dynamic_stack: false
    .vgpr_count:     12
    .vgpr_spill_count: 0
    .wavefront_size: 32
    .workgroup_processor_mode: 1
  - .args:
      - .offset:         0
        .size:           4
        .value_kind:     by_value
      - .address_space:  global
        .offset:         8
        .size:           8
        .value_kind:     global_buffer
      - .offset:         16
        .size:           8
        .value_kind:     by_value
      - .offset:         24
        .size:           8
        .value_kind:     by_value
      - .offset:         32
        .size:           8
        .value_kind:     by_value
      - .address_space:  global
        .offset:         40
        .size:           8
        .value_kind:     global_buffer
      - .offset:         48
        .size:           8
        .value_kind:     by_value
      - .offset:         56
        .size:           8
        .value_kind:     by_value
      - .offset:         64
        .size:           8
        .value_kind:     by_value
      - .address_space:  global
        .offset:         72
        .size:           8
        .value_kind:     global_buffer
      - .offset:         80
        .size:           8
        .value_kind:     by_value
      - .offset:         88
        .size:           4
        .value_kind:     by_value
    .group_segment_fixed_size: 128
    .kernarg_segment_align: 8
    .kernarg_segment_size: 92
    .language:       OpenCL C
    .language_version:
      - 2
      - 0
    .max_flat_workgroup_size: 512
    .name:           _ZL20rocblas_trmvt_kernelILi512ELb1ELb0ELb1EPKfPfS2_EviT3_lllT4_lllT5_li
    .private_segment_fixed_size: 0
    .sgpr_count:     29
    .sgpr_spill_count: 0
    .symbol:         _ZL20rocblas_trmvt_kernelILi512ELb1ELb0ELb1EPKfPfS2_EviT3_lllT4_lllT5_li.kd
    .uniform_work_group_size: 1
    .uses_dynamic_stack: false
    .vgpr_count:     10
    .vgpr_spill_count: 0
    .wavefront_size: 32
    .workgroup_processor_mode: 1
  - .args:
      - .offset:         0
        .size:           4
        .value_kind:     by_value
      - .address_space:  global
        .offset:         8
        .size:           8
        .value_kind:     global_buffer
      - .offset:         16
        .size:           8
        .value_kind:     by_value
      - .offset:         24
        .size:           8
        .value_kind:     by_value
      - .offset:         32
        .size:           8
        .value_kind:     by_value
      - .address_space:  global
        .offset:         40
        .size:           8
        .value_kind:     global_buffer
      - .offset:         48
        .size:           8
        .value_kind:     by_value
      - .offset:         56
        .size:           8
        .value_kind:     by_value
      - .offset:         64
        .size:           8
        .value_kind:     by_value
      - .address_space:  global
        .offset:         72
        .size:           8
        .value_kind:     global_buffer
      - .offset:         80
        .size:           8
        .value_kind:     by_value
      - .offset:         88
        .size:           4
        .value_kind:     by_value
    .group_segment_fixed_size: 128
    .kernarg_segment_align: 8
    .kernarg_segment_size: 92
    .language:       OpenCL C
    .language_version:
      - 2
      - 0
    .max_flat_workgroup_size: 512
    .name:           _ZL20rocblas_trmvt_kernelILi512ELb1ELb1ELb1EPKfPfS2_EviT3_lllT4_lllT5_li
    .private_segment_fixed_size: 0
    .sgpr_count:     29
    .sgpr_spill_count: 0
    .symbol:         _ZL20rocblas_trmvt_kernelILi512ELb1ELb1ELb1EPKfPfS2_EviT3_lllT4_lllT5_li.kd
    .uniform_work_group_size: 1
    .uses_dynamic_stack: false
    .vgpr_count:     10
    .vgpr_spill_count: 0
    .wavefront_size: 32
    .workgroup_processor_mode: 1
  - .args:
      - .offset:         0
        .size:           4
        .value_kind:     by_value
      - .address_space:  global
        .offset:         8
        .size:           8
        .value_kind:     global_buffer
      - .offset:         16
        .size:           8
        .value_kind:     by_value
      - .offset:         24
        .size:           8
        .value_kind:     by_value
      - .offset:         32
        .size:           8
        .value_kind:     by_value
      - .address_space:  global
        .offset:         40
        .size:           8
        .value_kind:     global_buffer
      - .offset:         48
        .size:           8
        .value_kind:     by_value
      - .offset:         56
        .size:           8
        .value_kind:     by_value
      - .offset:         64
        .size:           8
        .value_kind:     by_value
      - .address_space:  global
        .offset:         72
        .size:           8
        .value_kind:     global_buffer
      - .offset:         80
        .size:           8
        .value_kind:     by_value
      - .offset:         88
        .size:           4
        .value_kind:     by_value
      - .offset:         96
        .size:           4
        .value_kind:     hidden_block_count_x
      - .offset:         100
        .size:           4
        .value_kind:     hidden_block_count_y
      - .offset:         104
        .size:           4
        .value_kind:     hidden_block_count_z
      - .offset:         108
        .size:           2
        .value_kind:     hidden_group_size_x
      - .offset:         110
        .size:           2
        .value_kind:     hidden_group_size_y
      - .offset:         112
        .size:           2
        .value_kind:     hidden_group_size_z
      - .offset:         114
        .size:           2
        .value_kind:     hidden_remainder_x
      - .offset:         116
        .size:           2
        .value_kind:     hidden_remainder_y
      - .offset:         118
        .size:           2
        .value_kind:     hidden_remainder_z
      - .offset:         136
        .size:           8
        .value_kind:     hidden_global_offset_x
      - .offset:         144
        .size:           8
        .value_kind:     hidden_global_offset_y
      - .offset:         152
        .size:           8
        .value_kind:     hidden_global_offset_z
      - .offset:         160
        .size:           2
        .value_kind:     hidden_grid_dims
    .group_segment_fixed_size: 4096
    .kernarg_segment_align: 8
    .kernarg_segment_size: 352
    .language:       OpenCL C
    .language_version:
      - 2
      - 0
    .max_flat_workgroup_size: 1024
    .name:           _ZL20rocblas_trmvn_kernelILi64ELi16ELb1ELb0EPKfPfS2_EviT3_lllT4_lllT5_li
    .private_segment_fixed_size: 0
    .sgpr_count:     29
    .sgpr_spill_count: 0
    .symbol:         _ZL20rocblas_trmvn_kernelILi64ELi16ELb1ELb0EPKfPfS2_EviT3_lllT4_lllT5_li.kd
    .uniform_work_group_size: 1
    .uses_dynamic_stack: false
    .vgpr_count:     12
    .vgpr_spill_count: 0
    .wavefront_size: 32
    .workgroup_processor_mode: 1
  - .args:
      - .offset:         0
        .size:           4
        .value_kind:     by_value
      - .address_space:  global
        .offset:         8
        .size:           8
        .value_kind:     global_buffer
      - .offset:         16
        .size:           8
        .value_kind:     by_value
      - .offset:         24
        .size:           8
        .value_kind:     by_value
      - .offset:         32
        .size:           8
        .value_kind:     by_value
      - .address_space:  global
        .offset:         40
        .size:           8
        .value_kind:     global_buffer
      - .offset:         48
        .size:           8
        .value_kind:     by_value
      - .offset:         56
        .size:           8
        .value_kind:     by_value
      - .offset:         64
        .size:           8
        .value_kind:     by_value
      - .address_space:  global
        .offset:         72
        .size:           8
        .value_kind:     global_buffer
      - .offset:         80
        .size:           8
        .value_kind:     by_value
      - .offset:         88
        .size:           4
        .value_kind:     by_value
    .group_segment_fixed_size: 128
    .kernarg_segment_align: 8
    .kernarg_segment_size: 92
    .language:       OpenCL C
    .language_version:
      - 2
      - 0
    .max_flat_workgroup_size: 512
    .name:           _ZL20rocblas_trmvt_kernelILi512ELb1ELb0ELb0EPKfPfS2_EviT3_lllT4_lllT5_li
    .private_segment_fixed_size: 0
    .sgpr_count:     26
    .sgpr_spill_count: 0
    .symbol:         _ZL20rocblas_trmvt_kernelILi512ELb1ELb0ELb0EPKfPfS2_EviT3_lllT4_lllT5_li.kd
    .uniform_work_group_size: 1
    .uses_dynamic_stack: false
    .vgpr_count:     10
    .vgpr_spill_count: 0
    .wavefront_size: 32
    .workgroup_processor_mode: 1
  - .args:
      - .offset:         0
        .size:           4
        .value_kind:     by_value
      - .address_space:  global
        .offset:         8
        .size:           8
        .value_kind:     global_buffer
      - .offset:         16
        .size:           8
        .value_kind:     by_value
      - .offset:         24
        .size:           8
        .value_kind:     by_value
      - .offset:         32
        .size:           8
        .value_kind:     by_value
      - .address_space:  global
        .offset:         40
        .size:           8
        .value_kind:     global_buffer
      - .offset:         48
        .size:           8
        .value_kind:     by_value
      - .offset:         56
        .size:           8
        .value_kind:     by_value
      - .offset:         64
        .size:           8
        .value_kind:     by_value
      - .address_space:  global
        .offset:         72
        .size:           8
        .value_kind:     global_buffer
      - .offset:         80
        .size:           8
        .value_kind:     by_value
      - .offset:         88
        .size:           4
        .value_kind:     by_value
    .group_segment_fixed_size: 128
    .kernarg_segment_align: 8
    .kernarg_segment_size: 92
    .language:       OpenCL C
    .language_version:
      - 2
      - 0
    .max_flat_workgroup_size: 512
    .name:           _ZL20rocblas_trmvt_kernelILi512ELb1ELb1ELb0EPKfPfS2_EviT3_lllT4_lllT5_li
    .private_segment_fixed_size: 0
    .sgpr_count:     26
    .sgpr_spill_count: 0
    .symbol:         _ZL20rocblas_trmvt_kernelILi512ELb1ELb1ELb0EPKfPfS2_EviT3_lllT4_lllT5_li.kd
    .uniform_work_group_size: 1
    .uses_dynamic_stack: false
    .vgpr_count:     10
    .vgpr_spill_count: 0
    .wavefront_size: 32
    .workgroup_processor_mode: 1
  - .args:
      - .offset:         0
        .size:           4
        .value_kind:     by_value
      - .address_space:  global
        .offset:         8
        .size:           8
        .value_kind:     global_buffer
      - .offset:         16
        .size:           8
        .value_kind:     by_value
      - .offset:         24
        .size:           8
        .value_kind:     by_value
      - .offset:         32
        .size:           8
        .value_kind:     by_value
      - .address_space:  global
        .offset:         40
        .size:           8
        .value_kind:     global_buffer
      - .offset:         48
        .size:           8
        .value_kind:     by_value
      - .offset:         56
        .size:           8
        .value_kind:     by_value
      - .offset:         64
        .size:           8
        .value_kind:     by_value
      - .address_space:  global
        .offset:         72
        .size:           8
        .value_kind:     global_buffer
      - .offset:         80
        .size:           8
        .value_kind:     by_value
      - .offset:         88
        .size:           4
        .value_kind:     by_value
      - .offset:         96
        .size:           4
        .value_kind:     hidden_block_count_x
      - .offset:         100
        .size:           4
        .value_kind:     hidden_block_count_y
      - .offset:         104
        .size:           4
        .value_kind:     hidden_block_count_z
      - .offset:         108
        .size:           2
        .value_kind:     hidden_group_size_x
      - .offset:         110
        .size:           2
        .value_kind:     hidden_group_size_y
      - .offset:         112
        .size:           2
        .value_kind:     hidden_group_size_z
      - .offset:         114
        .size:           2
        .value_kind:     hidden_remainder_x
      - .offset:         116
        .size:           2
        .value_kind:     hidden_remainder_y
      - .offset:         118
        .size:           2
        .value_kind:     hidden_remainder_z
      - .offset:         136
        .size:           8
        .value_kind:     hidden_global_offset_x
      - .offset:         144
        .size:           8
        .value_kind:     hidden_global_offset_y
      - .offset:         152
        .size:           8
        .value_kind:     hidden_global_offset_z
      - .offset:         160
        .size:           2
        .value_kind:     hidden_grid_dims
    .group_segment_fixed_size: 8192
    .kernarg_segment_align: 8
    .kernarg_segment_size: 352
    .language:       OpenCL C
    .language_version:
      - 2
      - 0
    .max_flat_workgroup_size: 1024
    .name:           _ZL20rocblas_trmvn_kernelILi64ELi16ELb0ELb1EPKdPdS2_EviT3_lllT4_lllT5_li
    .private_segment_fixed_size: 0
    .sgpr_count:     27
    .sgpr_spill_count: 0
    .symbol:         _ZL20rocblas_trmvn_kernelILi64ELi16ELb0ELb1EPKdPdS2_EviT3_lllT4_lllT5_li.kd
    .uniform_work_group_size: 1
    .uses_dynamic_stack: false
    .vgpr_count:     14
    .vgpr_spill_count: 0
    .wavefront_size: 32
    .workgroup_processor_mode: 1
  - .args:
      - .offset:         0
        .size:           4
        .value_kind:     by_value
      - .address_space:  global
        .offset:         8
        .size:           8
        .value_kind:     global_buffer
      - .offset:         16
        .size:           8
        .value_kind:     by_value
      - .offset:         24
        .size:           8
        .value_kind:     by_value
      - .offset:         32
        .size:           8
        .value_kind:     by_value
      - .address_space:  global
        .offset:         40
        .size:           8
        .value_kind:     global_buffer
      - .offset:         48
        .size:           8
        .value_kind:     by_value
      - .offset:         56
        .size:           8
        .value_kind:     by_value
      - .offset:         64
        .size:           8
        .value_kind:     by_value
      - .address_space:  global
        .offset:         72
        .size:           8
        .value_kind:     global_buffer
      - .offset:         80
        .size:           8
        .value_kind:     by_value
      - .offset:         88
        .size:           4
        .value_kind:     by_value
    .group_segment_fixed_size: 256
    .kernarg_segment_align: 8
    .kernarg_segment_size: 92
    .language:       OpenCL C
    .language_version:
      - 2
      - 0
    .max_flat_workgroup_size: 512
    .name:           _ZL20rocblas_trmvt_kernelILi512ELb0ELb0ELb1EPKdPdS2_EviT3_lllT4_lllT5_li
    .private_segment_fixed_size: 0
    .sgpr_count:     29
    .sgpr_spill_count: 0
    .symbol:         _ZL20rocblas_trmvt_kernelILi512ELb0ELb0ELb1EPKdPdS2_EviT3_lllT4_lllT5_li.kd
    .uniform_work_group_size: 1
    .uses_dynamic_stack: false
    .vgpr_count:     12
    .vgpr_spill_count: 0
    .wavefront_size: 32
    .workgroup_processor_mode: 1
  - .args:
      - .offset:         0
        .size:           4
        .value_kind:     by_value
      - .address_space:  global
        .offset:         8
        .size:           8
        .value_kind:     global_buffer
      - .offset:         16
        .size:           8
        .value_kind:     by_value
      - .offset:         24
        .size:           8
        .value_kind:     by_value
      - .offset:         32
        .size:           8
        .value_kind:     by_value
      - .address_space:  global
        .offset:         40
        .size:           8
        .value_kind:     global_buffer
      - .offset:         48
        .size:           8
        .value_kind:     by_value
      - .offset:         56
        .size:           8
        .value_kind:     by_value
      - .offset:         64
        .size:           8
        .value_kind:     by_value
      - .address_space:  global
        .offset:         72
        .size:           8
        .value_kind:     global_buffer
      - .offset:         80
        .size:           8
        .value_kind:     by_value
      - .offset:         88
        .size:           4
        .value_kind:     by_value
    .group_segment_fixed_size: 256
    .kernarg_segment_align: 8
    .kernarg_segment_size: 92
    .language:       OpenCL C
    .language_version:
      - 2
      - 0
    .max_flat_workgroup_size: 512
    .name:           _ZL20rocblas_trmvt_kernelILi512ELb0ELb1ELb1EPKdPdS2_EviT3_lllT4_lllT5_li
    .private_segment_fixed_size: 0
    .sgpr_count:     29
    .sgpr_spill_count: 0
    .symbol:         _ZL20rocblas_trmvt_kernelILi512ELb0ELb1ELb1EPKdPdS2_EviT3_lllT4_lllT5_li.kd
    .uniform_work_group_size: 1
    .uses_dynamic_stack: false
    .vgpr_count:     12
    .vgpr_spill_count: 0
    .wavefront_size: 32
    .workgroup_processor_mode: 1
  - .args:
      - .offset:         0
        .size:           4
        .value_kind:     by_value
      - .address_space:  global
        .offset:         8
        .size:           8
        .value_kind:     global_buffer
      - .offset:         16
        .size:           8
        .value_kind:     by_value
      - .offset:         24
        .size:           8
        .value_kind:     by_value
      - .offset:         32
        .size:           8
        .value_kind:     by_value
      - .address_space:  global
        .offset:         40
        .size:           8
        .value_kind:     global_buffer
      - .offset:         48
        .size:           8
        .value_kind:     by_value
      - .offset:         56
        .size:           8
        .value_kind:     by_value
      - .offset:         64
        .size:           8
        .value_kind:     by_value
      - .address_space:  global
        .offset:         72
        .size:           8
        .value_kind:     global_buffer
      - .offset:         80
        .size:           8
        .value_kind:     by_value
      - .offset:         88
        .size:           4
        .value_kind:     by_value
      - .offset:         96
        .size:           4
        .value_kind:     hidden_block_count_x
      - .offset:         100
        .size:           4
        .value_kind:     hidden_block_count_y
      - .offset:         104
        .size:           4
        .value_kind:     hidden_block_count_z
      - .offset:         108
        .size:           2
        .value_kind:     hidden_group_size_x
      - .offset:         110
        .size:           2
        .value_kind:     hidden_group_size_y
      - .offset:         112
        .size:           2
        .value_kind:     hidden_group_size_z
      - .offset:         114
        .size:           2
        .value_kind:     hidden_remainder_x
      - .offset:         116
        .size:           2
        .value_kind:     hidden_remainder_y
      - .offset:         118
        .size:           2
        .value_kind:     hidden_remainder_z
      - .offset:         136
        .size:           8
        .value_kind:     hidden_global_offset_x
      - .offset:         144
        .size:           8
        .value_kind:     hidden_global_offset_y
      - .offset:         152
        .size:           8
        .value_kind:     hidden_global_offset_z
      - .offset:         160
        .size:           2
        .value_kind:     hidden_grid_dims
    .group_segment_fixed_size: 8192
    .kernarg_segment_align: 8
    .kernarg_segment_size: 352
    .language:       OpenCL C
    .language_version:
      - 2
      - 0
    .max_flat_workgroup_size: 1024
    .name:           _ZL20rocblas_trmvn_kernelILi64ELi16ELb0ELb0EPKdPdS2_EviT3_lllT4_lllT5_li
    .private_segment_fixed_size: 0
    .sgpr_count:     29
    .sgpr_spill_count: 0
    .symbol:         _ZL20rocblas_trmvn_kernelILi64ELi16ELb0ELb0EPKdPdS2_EviT3_lllT4_lllT5_li.kd
    .uniform_work_group_size: 1
    .uses_dynamic_stack: false
    .vgpr_count:     14
    .vgpr_spill_count: 0
    .wavefront_size: 32
    .workgroup_processor_mode: 1
  - .args:
      - .offset:         0
        .size:           4
        .value_kind:     by_value
      - .address_space:  global
        .offset:         8
        .size:           8
        .value_kind:     global_buffer
      - .offset:         16
        .size:           8
        .value_kind:     by_value
      - .offset:         24
        .size:           8
        .value_kind:     by_value
      - .offset:         32
        .size:           8
        .value_kind:     by_value
      - .address_space:  global
        .offset:         40
        .size:           8
        .value_kind:     global_buffer
      - .offset:         48
        .size:           8
        .value_kind:     by_value
      - .offset:         56
        .size:           8
        .value_kind:     by_value
      - .offset:         64
        .size:           8
        .value_kind:     by_value
      - .address_space:  global
        .offset:         72
        .size:           8
        .value_kind:     global_buffer
      - .offset:         80
        .size:           8
        .value_kind:     by_value
      - .offset:         88
        .size:           4
        .value_kind:     by_value
    .group_segment_fixed_size: 256
    .kernarg_segment_align: 8
    .kernarg_segment_size: 92
    .language:       OpenCL C
    .language_version:
      - 2
      - 0
    .max_flat_workgroup_size: 512
    .name:           _ZL20rocblas_trmvt_kernelILi512ELb0ELb0ELb0EPKdPdS2_EviT3_lllT4_lllT5_li
    .private_segment_fixed_size: 0
    .sgpr_count:     26
    .sgpr_spill_count: 0
    .symbol:         _ZL20rocblas_trmvt_kernelILi512ELb0ELb0ELb0EPKdPdS2_EviT3_lllT4_lllT5_li.kd
    .uniform_work_group_size: 1
    .uses_dynamic_stack: false
    .vgpr_count:     12
    .vgpr_spill_count: 0
    .wavefront_size: 32
    .workgroup_processor_mode: 1
  - .args:
      - .offset:         0
        .size:           4
        .value_kind:     by_value
      - .address_space:  global
        .offset:         8
        .size:           8
        .value_kind:     global_buffer
      - .offset:         16
        .size:           8
        .value_kind:     by_value
      - .offset:         24
        .size:           8
        .value_kind:     by_value
      - .offset:         32
        .size:           8
        .value_kind:     by_value
      - .address_space:  global
        .offset:         40
        .size:           8
        .value_kind:     global_buffer
      - .offset:         48
        .size:           8
        .value_kind:     by_value
      - .offset:         56
        .size:           8
        .value_kind:     by_value
      - .offset:         64
        .size:           8
        .value_kind:     by_value
      - .address_space:  global
        .offset:         72
        .size:           8
        .value_kind:     global_buffer
      - .offset:         80
        .size:           8
        .value_kind:     by_value
      - .offset:         88
        .size:           4
        .value_kind:     by_value
    .group_segment_fixed_size: 256
    .kernarg_segment_align: 8
    .kernarg_segment_size: 92
    .language:       OpenCL C
    .language_version:
      - 2
      - 0
    .max_flat_workgroup_size: 512
    .name:           _ZL20rocblas_trmvt_kernelILi512ELb0ELb1ELb0EPKdPdS2_EviT3_lllT4_lllT5_li
    .private_segment_fixed_size: 0
    .sgpr_count:     26
    .sgpr_spill_count: 0
    .symbol:         _ZL20rocblas_trmvt_kernelILi512ELb0ELb1ELb0EPKdPdS2_EviT3_lllT4_lllT5_li.kd
    .uniform_work_group_size: 1
    .uses_dynamic_stack: false
    .vgpr_count:     12
    .vgpr_spill_count: 0
    .wavefront_size: 32
    .workgroup_processor_mode: 1
  - .args:
      - .offset:         0
        .size:           4
        .value_kind:     by_value
      - .address_space:  global
        .offset:         8
        .size:           8
        .value_kind:     global_buffer
      - .offset:         16
        .size:           8
        .value_kind:     by_value
      - .offset:         24
        .size:           8
        .value_kind:     by_value
      - .offset:         32
        .size:           8
        .value_kind:     by_value
      - .address_space:  global
        .offset:         40
        .size:           8
        .value_kind:     global_buffer
      - .offset:         48
        .size:           8
        .value_kind:     by_value
      - .offset:         56
        .size:           8
        .value_kind:     by_value
      - .offset:         64
        .size:           8
        .value_kind:     by_value
      - .address_space:  global
        .offset:         72
        .size:           8
        .value_kind:     global_buffer
      - .offset:         80
        .size:           8
        .value_kind:     by_value
      - .offset:         88
        .size:           4
        .value_kind:     by_value
      - .offset:         96
        .size:           4
        .value_kind:     hidden_block_count_x
      - .offset:         100
        .size:           4
        .value_kind:     hidden_block_count_y
      - .offset:         104
        .size:           4
        .value_kind:     hidden_block_count_z
      - .offset:         108
        .size:           2
        .value_kind:     hidden_group_size_x
      - .offset:         110
        .size:           2
        .value_kind:     hidden_group_size_y
      - .offset:         112
        .size:           2
        .value_kind:     hidden_group_size_z
      - .offset:         114
        .size:           2
        .value_kind:     hidden_remainder_x
      - .offset:         116
        .size:           2
        .value_kind:     hidden_remainder_y
      - .offset:         118
        .size:           2
        .value_kind:     hidden_remainder_z
      - .offset:         136
        .size:           8
        .value_kind:     hidden_global_offset_x
      - .offset:         144
        .size:           8
        .value_kind:     hidden_global_offset_y
      - .offset:         152
        .size:           8
        .value_kind:     hidden_global_offset_z
      - .offset:         160
        .size:           2
        .value_kind:     hidden_grid_dims
    .group_segment_fixed_size: 8192
    .kernarg_segment_align: 8
    .kernarg_segment_size: 352
    .language:       OpenCL C
    .language_version:
      - 2
      - 0
    .max_flat_workgroup_size: 1024
    .name:           _ZL20rocblas_trmvn_kernelILi64ELi16ELb1ELb1EPKdPdS2_EviT3_lllT4_lllT5_li
    .private_segment_fixed_size: 0
    .sgpr_count:     27
    .sgpr_spill_count: 0
    .symbol:         _ZL20rocblas_trmvn_kernelILi64ELi16ELb1ELb1EPKdPdS2_EviT3_lllT4_lllT5_li.kd
    .uniform_work_group_size: 1
    .uses_dynamic_stack: false
    .vgpr_count:     14
    .vgpr_spill_count: 0
    .wavefront_size: 32
    .workgroup_processor_mode: 1
  - .args:
      - .offset:         0
        .size:           4
        .value_kind:     by_value
      - .address_space:  global
        .offset:         8
        .size:           8
        .value_kind:     global_buffer
      - .offset:         16
        .size:           8
        .value_kind:     by_value
      - .offset:         24
        .size:           8
        .value_kind:     by_value
      - .offset:         32
        .size:           8
        .value_kind:     by_value
      - .address_space:  global
        .offset:         40
        .size:           8
        .value_kind:     global_buffer
      - .offset:         48
        .size:           8
        .value_kind:     by_value
      - .offset:         56
        .size:           8
        .value_kind:     by_value
      - .offset:         64
        .size:           8
        .value_kind:     by_value
      - .address_space:  global
        .offset:         72
        .size:           8
        .value_kind:     global_buffer
      - .offset:         80
        .size:           8
        .value_kind:     by_value
      - .offset:         88
        .size:           4
        .value_kind:     by_value
    .group_segment_fixed_size: 256
    .kernarg_segment_align: 8
    .kernarg_segment_size: 92
    .language:       OpenCL C
    .language_version:
      - 2
      - 0
    .max_flat_workgroup_size: 512
    .name:           _ZL20rocblas_trmvt_kernelILi512ELb1ELb0ELb1EPKdPdS2_EviT3_lllT4_lllT5_li
    .private_segment_fixed_size: 0
    .sgpr_count:     29
    .sgpr_spill_count: 0
    .symbol:         _ZL20rocblas_trmvt_kernelILi512ELb1ELb0ELb1EPKdPdS2_EviT3_lllT4_lllT5_li.kd
    .uniform_work_group_size: 1
    .uses_dynamic_stack: false
    .vgpr_count:     12
    .vgpr_spill_count: 0
    .wavefront_size: 32
    .workgroup_processor_mode: 1
  - .args:
      - .offset:         0
        .size:           4
        .value_kind:     by_value
      - .address_space:  global
        .offset:         8
        .size:           8
        .value_kind:     global_buffer
      - .offset:         16
        .size:           8
        .value_kind:     by_value
      - .offset:         24
        .size:           8
        .value_kind:     by_value
      - .offset:         32
        .size:           8
        .value_kind:     by_value
      - .address_space:  global
        .offset:         40
        .size:           8
        .value_kind:     global_buffer
      - .offset:         48
        .size:           8
        .value_kind:     by_value
      - .offset:         56
        .size:           8
        .value_kind:     by_value
      - .offset:         64
        .size:           8
        .value_kind:     by_value
      - .address_space:  global
        .offset:         72
        .size:           8
        .value_kind:     global_buffer
      - .offset:         80
        .size:           8
        .value_kind:     by_value
      - .offset:         88
        .size:           4
        .value_kind:     by_value
    .group_segment_fixed_size: 256
    .kernarg_segment_align: 8
    .kernarg_segment_size: 92
    .language:       OpenCL C
    .language_version:
      - 2
      - 0
    .max_flat_workgroup_size: 512
    .name:           _ZL20rocblas_trmvt_kernelILi512ELb1ELb1ELb1EPKdPdS2_EviT3_lllT4_lllT5_li
    .private_segment_fixed_size: 0
    .sgpr_count:     29
    .sgpr_spill_count: 0
    .symbol:         _ZL20rocblas_trmvt_kernelILi512ELb1ELb1ELb1EPKdPdS2_EviT3_lllT4_lllT5_li.kd
    .uniform_work_group_size: 1
    .uses_dynamic_stack: false
    .vgpr_count:     12
    .vgpr_spill_count: 0
    .wavefront_size: 32
    .workgroup_processor_mode: 1
  - .args:
      - .offset:         0
        .size:           4
        .value_kind:     by_value
      - .address_space:  global
        .offset:         8
        .size:           8
        .value_kind:     global_buffer
      - .offset:         16
        .size:           8
        .value_kind:     by_value
      - .offset:         24
        .size:           8
        .value_kind:     by_value
      - .offset:         32
        .size:           8
        .value_kind:     by_value
      - .address_space:  global
        .offset:         40
        .size:           8
        .value_kind:     global_buffer
      - .offset:         48
        .size:           8
        .value_kind:     by_value
      - .offset:         56
        .size:           8
        .value_kind:     by_value
      - .offset:         64
        .size:           8
        .value_kind:     by_value
      - .address_space:  global
        .offset:         72
        .size:           8
        .value_kind:     global_buffer
      - .offset:         80
        .size:           8
        .value_kind:     by_value
      - .offset:         88
        .size:           4
        .value_kind:     by_value
      - .offset:         96
        .size:           4
        .value_kind:     hidden_block_count_x
      - .offset:         100
        .size:           4
        .value_kind:     hidden_block_count_y
      - .offset:         104
        .size:           4
        .value_kind:     hidden_block_count_z
      - .offset:         108
        .size:           2
        .value_kind:     hidden_group_size_x
      - .offset:         110
        .size:           2
        .value_kind:     hidden_group_size_y
      - .offset:         112
        .size:           2
        .value_kind:     hidden_group_size_z
      - .offset:         114
        .size:           2
        .value_kind:     hidden_remainder_x
      - .offset:         116
        .size:           2
        .value_kind:     hidden_remainder_y
      - .offset:         118
        .size:           2
        .value_kind:     hidden_remainder_z
      - .offset:         136
        .size:           8
        .value_kind:     hidden_global_offset_x
      - .offset:         144
        .size:           8
        .value_kind:     hidden_global_offset_y
      - .offset:         152
        .size:           8
        .value_kind:     hidden_global_offset_z
      - .offset:         160
        .size:           2
        .value_kind:     hidden_grid_dims
    .group_segment_fixed_size: 8192
    .kernarg_segment_align: 8
    .kernarg_segment_size: 352
    .language:       OpenCL C
    .language_version:
      - 2
      - 0
    .max_flat_workgroup_size: 1024
    .name:           _ZL20rocblas_trmvn_kernelILi64ELi16ELb1ELb0EPKdPdS2_EviT3_lllT4_lllT5_li
    .private_segment_fixed_size: 0
    .sgpr_count:     29
    .sgpr_spill_count: 0
    .symbol:         _ZL20rocblas_trmvn_kernelILi64ELi16ELb1ELb0EPKdPdS2_EviT3_lllT4_lllT5_li.kd
    .uniform_work_group_size: 1
    .uses_dynamic_stack: false
    .vgpr_count:     14
    .vgpr_spill_count: 0
    .wavefront_size: 32
    .workgroup_processor_mode: 1
  - .args:
      - .offset:         0
        .size:           4
        .value_kind:     by_value
      - .address_space:  global
        .offset:         8
        .size:           8
        .value_kind:     global_buffer
      - .offset:         16
        .size:           8
        .value_kind:     by_value
      - .offset:         24
        .size:           8
        .value_kind:     by_value
      - .offset:         32
        .size:           8
        .value_kind:     by_value
      - .address_space:  global
        .offset:         40
        .size:           8
        .value_kind:     global_buffer
      - .offset:         48
        .size:           8
        .value_kind:     by_value
      - .offset:         56
        .size:           8
        .value_kind:     by_value
      - .offset:         64
        .size:           8
        .value_kind:     by_value
      - .address_space:  global
        .offset:         72
        .size:           8
        .value_kind:     global_buffer
      - .offset:         80
        .size:           8
        .value_kind:     by_value
      - .offset:         88
        .size:           4
        .value_kind:     by_value
    .group_segment_fixed_size: 256
    .kernarg_segment_align: 8
    .kernarg_segment_size: 92
    .language:       OpenCL C
    .language_version:
      - 2
      - 0
    .max_flat_workgroup_size: 512
    .name:           _ZL20rocblas_trmvt_kernelILi512ELb1ELb0ELb0EPKdPdS2_EviT3_lllT4_lllT5_li
    .private_segment_fixed_size: 0
    .sgpr_count:     26
    .sgpr_spill_count: 0
    .symbol:         _ZL20rocblas_trmvt_kernelILi512ELb1ELb0ELb0EPKdPdS2_EviT3_lllT4_lllT5_li.kd
    .uniform_work_group_size: 1
    .uses_dynamic_stack: false
    .vgpr_count:     12
    .vgpr_spill_count: 0
    .wavefront_size: 32
    .workgroup_processor_mode: 1
  - .args:
      - .offset:         0
        .size:           4
        .value_kind:     by_value
      - .address_space:  global
        .offset:         8
        .size:           8
        .value_kind:     global_buffer
      - .offset:         16
        .size:           8
        .value_kind:     by_value
      - .offset:         24
        .size:           8
        .value_kind:     by_value
      - .offset:         32
        .size:           8
        .value_kind:     by_value
      - .address_space:  global
        .offset:         40
        .size:           8
        .value_kind:     global_buffer
      - .offset:         48
        .size:           8
        .value_kind:     by_value
      - .offset:         56
        .size:           8
        .value_kind:     by_value
      - .offset:         64
        .size:           8
        .value_kind:     by_value
      - .address_space:  global
        .offset:         72
        .size:           8
        .value_kind:     global_buffer
      - .offset:         80
        .size:           8
        .value_kind:     by_value
      - .offset:         88
        .size:           4
        .value_kind:     by_value
    .group_segment_fixed_size: 256
    .kernarg_segment_align: 8
    .kernarg_segment_size: 92
    .language:       OpenCL C
    .language_version:
      - 2
      - 0
    .max_flat_workgroup_size: 512
    .name:           _ZL20rocblas_trmvt_kernelILi512ELb1ELb1ELb0EPKdPdS2_EviT3_lllT4_lllT5_li
    .private_segment_fixed_size: 0
    .sgpr_count:     26
    .sgpr_spill_count: 0
    .symbol:         _ZL20rocblas_trmvt_kernelILi512ELb1ELb1ELb0EPKdPdS2_EviT3_lllT4_lllT5_li.kd
    .uniform_work_group_size: 1
    .uses_dynamic_stack: false
    .vgpr_count:     12
    .vgpr_spill_count: 0
    .wavefront_size: 32
    .workgroup_processor_mode: 1
  - .args:
      - .offset:         0
        .size:           4
        .value_kind:     by_value
      - .address_space:  global
        .offset:         8
        .size:           8
        .value_kind:     global_buffer
      - .offset:         16
        .size:           8
        .value_kind:     by_value
      - .offset:         24
        .size:           8
        .value_kind:     by_value
      - .offset:         32
        .size:           8
        .value_kind:     by_value
      - .address_space:  global
        .offset:         40
        .size:           8
        .value_kind:     global_buffer
      - .offset:         48
        .size:           8
        .value_kind:     by_value
      - .offset:         56
        .size:           8
        .value_kind:     by_value
      - .offset:         64
        .size:           8
        .value_kind:     by_value
      - .address_space:  global
        .offset:         72
        .size:           8
        .value_kind:     global_buffer
      - .offset:         80
        .size:           8
        .value_kind:     by_value
      - .offset:         88
        .size:           4
        .value_kind:     by_value
      - .offset:         96
        .size:           4
        .value_kind:     hidden_block_count_x
      - .offset:         100
        .size:           4
        .value_kind:     hidden_block_count_y
      - .offset:         104
        .size:           4
        .value_kind:     hidden_block_count_z
      - .offset:         108
        .size:           2
        .value_kind:     hidden_group_size_x
      - .offset:         110
        .size:           2
        .value_kind:     hidden_group_size_y
      - .offset:         112
        .size:           2
        .value_kind:     hidden_group_size_z
      - .offset:         114
        .size:           2
        .value_kind:     hidden_remainder_x
      - .offset:         116
        .size:           2
        .value_kind:     hidden_remainder_y
      - .offset:         118
        .size:           2
        .value_kind:     hidden_remainder_z
      - .offset:         136
        .size:           8
        .value_kind:     hidden_global_offset_x
      - .offset:         144
        .size:           8
        .value_kind:     hidden_global_offset_y
      - .offset:         152
        .size:           8
        .value_kind:     hidden_global_offset_z
      - .offset:         160
        .size:           2
        .value_kind:     hidden_grid_dims
    .group_segment_fixed_size: 8192
    .kernarg_segment_align: 8
    .kernarg_segment_size: 352
    .language:       OpenCL C
    .language_version:
      - 2
      - 0
    .max_flat_workgroup_size: 1024
    .name:           _ZL20rocblas_trmvn_kernelILi64ELi16ELb0ELb1EPK19rocblas_complex_numIfEPS1_S4_EviT3_lllT4_lllT5_li
    .private_segment_fixed_size: 0
    .sgpr_count:     27
    .sgpr_spill_count: 0
    .symbol:         _ZL20rocblas_trmvn_kernelILi64ELi16ELb0ELb1EPK19rocblas_complex_numIfEPS1_S4_EviT3_lllT4_lllT5_li.kd
    .uniform_work_group_size: 1
    .uses_dynamic_stack: false
    .vgpr_count:     16
    .vgpr_spill_count: 0
    .wavefront_size: 32
    .workgroup_processor_mode: 1
  - .args:
      - .offset:         0
        .size:           4
        .value_kind:     by_value
      - .address_space:  global
        .offset:         8
        .size:           8
        .value_kind:     global_buffer
      - .offset:         16
        .size:           8
        .value_kind:     by_value
      - .offset:         24
        .size:           8
        .value_kind:     by_value
      - .offset:         32
        .size:           8
        .value_kind:     by_value
      - .address_space:  global
        .offset:         40
        .size:           8
        .value_kind:     global_buffer
      - .offset:         48
        .size:           8
        .value_kind:     by_value
      - .offset:         56
        .size:           8
        .value_kind:     by_value
      - .offset:         64
        .size:           8
        .value_kind:     by_value
      - .address_space:  global
        .offset:         72
        .size:           8
        .value_kind:     global_buffer
      - .offset:         80
        .size:           8
        .value_kind:     by_value
      - .offset:         88
        .size:           4
        .value_kind:     by_value
    .group_segment_fixed_size: 256
    .kernarg_segment_align: 8
    .kernarg_segment_size: 92
    .language:       OpenCL C
    .language_version:
      - 2
      - 0
    .max_flat_workgroup_size: 512
    .name:           _ZL20rocblas_trmvt_kernelILi512ELb0ELb0ELb1EPK19rocblas_complex_numIfEPS1_S4_EviT3_lllT4_lllT5_li
    .private_segment_fixed_size: 0
    .sgpr_count:     29
    .sgpr_spill_count: 0
    .symbol:         _ZL20rocblas_trmvt_kernelILi512ELb0ELb0ELb1EPK19rocblas_complex_numIfEPS1_S4_EviT3_lllT4_lllT5_li.kd
    .uniform_work_group_size: 1
    .uses_dynamic_stack: false
    .vgpr_count:     13
    .vgpr_spill_count: 0
    .wavefront_size: 32
    .workgroup_processor_mode: 1
  - .args:
      - .offset:         0
        .size:           4
        .value_kind:     by_value
      - .address_space:  global
        .offset:         8
        .size:           8
        .value_kind:     global_buffer
      - .offset:         16
        .size:           8
        .value_kind:     by_value
      - .offset:         24
        .size:           8
        .value_kind:     by_value
      - .offset:         32
        .size:           8
        .value_kind:     by_value
      - .address_space:  global
        .offset:         40
        .size:           8
        .value_kind:     global_buffer
      - .offset:         48
        .size:           8
        .value_kind:     by_value
      - .offset:         56
        .size:           8
        .value_kind:     by_value
      - .offset:         64
        .size:           8
        .value_kind:     by_value
      - .address_space:  global
        .offset:         72
        .size:           8
        .value_kind:     global_buffer
      - .offset:         80
        .size:           8
        .value_kind:     by_value
      - .offset:         88
        .size:           4
        .value_kind:     by_value
    .group_segment_fixed_size: 256
    .kernarg_segment_align: 8
    .kernarg_segment_size: 92
    .language:       OpenCL C
    .language_version:
      - 2
      - 0
    .max_flat_workgroup_size: 512
    .name:           _ZL20rocblas_trmvt_kernelILi512ELb0ELb1ELb1EPK19rocblas_complex_numIfEPS1_S4_EviT3_lllT4_lllT5_li
    .private_segment_fixed_size: 0
    .sgpr_count:     29
    .sgpr_spill_count: 0
    .symbol:         _ZL20rocblas_trmvt_kernelILi512ELb0ELb1ELb1EPK19rocblas_complex_numIfEPS1_S4_EviT3_lllT4_lllT5_li.kd
    .uniform_work_group_size: 1
    .uses_dynamic_stack: false
    .vgpr_count:     13
    .vgpr_spill_count: 0
    .wavefront_size: 32
    .workgroup_processor_mode: 1
  - .args:
      - .offset:         0
        .size:           4
        .value_kind:     by_value
      - .address_space:  global
        .offset:         8
        .size:           8
        .value_kind:     global_buffer
      - .offset:         16
        .size:           8
        .value_kind:     by_value
      - .offset:         24
        .size:           8
        .value_kind:     by_value
      - .offset:         32
        .size:           8
        .value_kind:     by_value
      - .address_space:  global
        .offset:         40
        .size:           8
        .value_kind:     global_buffer
      - .offset:         48
        .size:           8
        .value_kind:     by_value
      - .offset:         56
        .size:           8
        .value_kind:     by_value
      - .offset:         64
        .size:           8
        .value_kind:     by_value
      - .address_space:  global
        .offset:         72
        .size:           8
        .value_kind:     global_buffer
      - .offset:         80
        .size:           8
        .value_kind:     by_value
      - .offset:         88
        .size:           4
        .value_kind:     by_value
      - .offset:         96
        .size:           4
        .value_kind:     hidden_block_count_x
      - .offset:         100
        .size:           4
        .value_kind:     hidden_block_count_y
      - .offset:         104
        .size:           4
        .value_kind:     hidden_block_count_z
      - .offset:         108
        .size:           2
        .value_kind:     hidden_group_size_x
      - .offset:         110
        .size:           2
        .value_kind:     hidden_group_size_y
      - .offset:         112
        .size:           2
        .value_kind:     hidden_group_size_z
      - .offset:         114
        .size:           2
        .value_kind:     hidden_remainder_x
      - .offset:         116
        .size:           2
        .value_kind:     hidden_remainder_y
      - .offset:         118
        .size:           2
        .value_kind:     hidden_remainder_z
      - .offset:         136
        .size:           8
        .value_kind:     hidden_global_offset_x
      - .offset:         144
        .size:           8
        .value_kind:     hidden_global_offset_y
      - .offset:         152
        .size:           8
        .value_kind:     hidden_global_offset_z
      - .offset:         160
        .size:           2
        .value_kind:     hidden_grid_dims
    .group_segment_fixed_size: 8192
    .kernarg_segment_align: 8
    .kernarg_segment_size: 352
    .language:       OpenCL C
    .language_version:
      - 2
      - 0
    .max_flat_workgroup_size: 1024
    .name:           _ZL20rocblas_trmvn_kernelILi64ELi16ELb0ELb0EPK19rocblas_complex_numIfEPS1_S4_EviT3_lllT4_lllT5_li
    .private_segment_fixed_size: 0
    .sgpr_count:     29
    .sgpr_spill_count: 0
    .symbol:         _ZL20rocblas_trmvn_kernelILi64ELi16ELb0ELb0EPK19rocblas_complex_numIfEPS1_S4_EviT3_lllT4_lllT5_li.kd
    .uniform_work_group_size: 1
    .uses_dynamic_stack: false
    .vgpr_count:     16
    .vgpr_spill_count: 0
    .wavefront_size: 32
    .workgroup_processor_mode: 1
  - .args:
      - .offset:         0
        .size:           4
        .value_kind:     by_value
      - .address_space:  global
        .offset:         8
        .size:           8
        .value_kind:     global_buffer
      - .offset:         16
        .size:           8
        .value_kind:     by_value
      - .offset:         24
        .size:           8
        .value_kind:     by_value
      - .offset:         32
        .size:           8
        .value_kind:     by_value
      - .address_space:  global
        .offset:         40
        .size:           8
        .value_kind:     global_buffer
      - .offset:         48
        .size:           8
        .value_kind:     by_value
      - .offset:         56
        .size:           8
        .value_kind:     by_value
      - .offset:         64
        .size:           8
        .value_kind:     by_value
      - .address_space:  global
        .offset:         72
        .size:           8
        .value_kind:     global_buffer
      - .offset:         80
        .size:           8
        .value_kind:     by_value
      - .offset:         88
        .size:           4
        .value_kind:     by_value
    .group_segment_fixed_size: 256
    .kernarg_segment_align: 8
    .kernarg_segment_size: 92
    .language:       OpenCL C
    .language_version:
      - 2
      - 0
    .max_flat_workgroup_size: 512
    .name:           _ZL20rocblas_trmvt_kernelILi512ELb0ELb0ELb0EPK19rocblas_complex_numIfEPS1_S4_EviT3_lllT4_lllT5_li
    .private_segment_fixed_size: 0
    .sgpr_count:     27
    .sgpr_spill_count: 0
    .symbol:         _ZL20rocblas_trmvt_kernelILi512ELb0ELb0ELb0EPK19rocblas_complex_numIfEPS1_S4_EviT3_lllT4_lllT5_li.kd
    .uniform_work_group_size: 1
    .uses_dynamic_stack: false
    .vgpr_count:     13
    .vgpr_spill_count: 0
    .wavefront_size: 32
    .workgroup_processor_mode: 1
  - .args:
      - .offset:         0
        .size:           4
        .value_kind:     by_value
      - .address_space:  global
        .offset:         8
        .size:           8
        .value_kind:     global_buffer
      - .offset:         16
        .size:           8
        .value_kind:     by_value
      - .offset:         24
        .size:           8
        .value_kind:     by_value
      - .offset:         32
        .size:           8
        .value_kind:     by_value
      - .address_space:  global
        .offset:         40
        .size:           8
        .value_kind:     global_buffer
      - .offset:         48
        .size:           8
        .value_kind:     by_value
      - .offset:         56
        .size:           8
        .value_kind:     by_value
      - .offset:         64
        .size:           8
        .value_kind:     by_value
      - .address_space:  global
        .offset:         72
        .size:           8
        .value_kind:     global_buffer
      - .offset:         80
        .size:           8
        .value_kind:     by_value
      - .offset:         88
        .size:           4
        .value_kind:     by_value
    .group_segment_fixed_size: 256
    .kernarg_segment_align: 8
    .kernarg_segment_size: 92
    .language:       OpenCL C
    .language_version:
      - 2
      - 0
    .max_flat_workgroup_size: 512
    .name:           _ZL20rocblas_trmvt_kernelILi512ELb0ELb1ELb0EPK19rocblas_complex_numIfEPS1_S4_EviT3_lllT4_lllT5_li
    .private_segment_fixed_size: 0
    .sgpr_count:     32
    .sgpr_spill_count: 0
    .symbol:         _ZL20rocblas_trmvt_kernelILi512ELb0ELb1ELb0EPK19rocblas_complex_numIfEPS1_S4_EviT3_lllT4_lllT5_li.kd
    .uniform_work_group_size: 1
    .uses_dynamic_stack: false
    .vgpr_count:     13
    .vgpr_spill_count: 0
    .wavefront_size: 32
    .workgroup_processor_mode: 1
  - .args:
      - .offset:         0
        .size:           4
        .value_kind:     by_value
      - .address_space:  global
        .offset:         8
        .size:           8
        .value_kind:     global_buffer
      - .offset:         16
        .size:           8
        .value_kind:     by_value
      - .offset:         24
        .size:           8
        .value_kind:     by_value
      - .offset:         32
        .size:           8
        .value_kind:     by_value
      - .address_space:  global
        .offset:         40
        .size:           8
        .value_kind:     global_buffer
      - .offset:         48
        .size:           8
        .value_kind:     by_value
      - .offset:         56
        .size:           8
        .value_kind:     by_value
      - .offset:         64
        .size:           8
        .value_kind:     by_value
      - .address_space:  global
        .offset:         72
        .size:           8
        .value_kind:     global_buffer
      - .offset:         80
        .size:           8
        .value_kind:     by_value
      - .offset:         88
        .size:           4
        .value_kind:     by_value
      - .offset:         96
        .size:           4
        .value_kind:     hidden_block_count_x
      - .offset:         100
        .size:           4
        .value_kind:     hidden_block_count_y
      - .offset:         104
        .size:           4
        .value_kind:     hidden_block_count_z
      - .offset:         108
        .size:           2
        .value_kind:     hidden_group_size_x
      - .offset:         110
        .size:           2
        .value_kind:     hidden_group_size_y
      - .offset:         112
        .size:           2
        .value_kind:     hidden_group_size_z
      - .offset:         114
        .size:           2
        .value_kind:     hidden_remainder_x
      - .offset:         116
        .size:           2
        .value_kind:     hidden_remainder_y
      - .offset:         118
        .size:           2
        .value_kind:     hidden_remainder_z
      - .offset:         136
        .size:           8
        .value_kind:     hidden_global_offset_x
      - .offset:         144
        .size:           8
        .value_kind:     hidden_global_offset_y
      - .offset:         152
        .size:           8
        .value_kind:     hidden_global_offset_z
      - .offset:         160
        .size:           2
        .value_kind:     hidden_grid_dims
    .group_segment_fixed_size: 8192
    .kernarg_segment_align: 8
    .kernarg_segment_size: 352
    .language:       OpenCL C
    .language_version:
      - 2
      - 0
    .max_flat_workgroup_size: 1024
    .name:           _ZL20rocblas_trmvn_kernelILi64ELi16ELb1ELb1EPK19rocblas_complex_numIfEPS1_S4_EviT3_lllT4_lllT5_li
    .private_segment_fixed_size: 0
    .sgpr_count:     27
    .sgpr_spill_count: 0
    .symbol:         _ZL20rocblas_trmvn_kernelILi64ELi16ELb1ELb1EPK19rocblas_complex_numIfEPS1_S4_EviT3_lllT4_lllT5_li.kd
    .uniform_work_group_size: 1
    .uses_dynamic_stack: false
    .vgpr_count:     16
    .vgpr_spill_count: 0
    .wavefront_size: 32
    .workgroup_processor_mode: 1
  - .args:
      - .offset:         0
        .size:           4
        .value_kind:     by_value
      - .address_space:  global
        .offset:         8
        .size:           8
        .value_kind:     global_buffer
      - .offset:         16
        .size:           8
        .value_kind:     by_value
      - .offset:         24
        .size:           8
        .value_kind:     by_value
      - .offset:         32
        .size:           8
        .value_kind:     by_value
      - .address_space:  global
        .offset:         40
        .size:           8
        .value_kind:     global_buffer
      - .offset:         48
        .size:           8
        .value_kind:     by_value
      - .offset:         56
        .size:           8
        .value_kind:     by_value
      - .offset:         64
        .size:           8
        .value_kind:     by_value
      - .address_space:  global
        .offset:         72
        .size:           8
        .value_kind:     global_buffer
      - .offset:         80
        .size:           8
        .value_kind:     by_value
      - .offset:         88
        .size:           4
        .value_kind:     by_value
    .group_segment_fixed_size: 256
    .kernarg_segment_align: 8
    .kernarg_segment_size: 92
    .language:       OpenCL C
    .language_version:
      - 2
      - 0
    .max_flat_workgroup_size: 512
    .name:           _ZL20rocblas_trmvt_kernelILi512ELb1ELb0ELb1EPK19rocblas_complex_numIfEPS1_S4_EviT3_lllT4_lllT5_li
    .private_segment_fixed_size: 0
    .sgpr_count:     29
    .sgpr_spill_count: 0
    .symbol:         _ZL20rocblas_trmvt_kernelILi512ELb1ELb0ELb1EPK19rocblas_complex_numIfEPS1_S4_EviT3_lllT4_lllT5_li.kd
    .uniform_work_group_size: 1
    .uses_dynamic_stack: false
    .vgpr_count:     13
    .vgpr_spill_count: 0
    .wavefront_size: 32
    .workgroup_processor_mode: 1
  - .args:
      - .offset:         0
        .size:           4
        .value_kind:     by_value
      - .address_space:  global
        .offset:         8
        .size:           8
        .value_kind:     global_buffer
      - .offset:         16
        .size:           8
        .value_kind:     by_value
      - .offset:         24
        .size:           8
        .value_kind:     by_value
      - .offset:         32
        .size:           8
        .value_kind:     by_value
      - .address_space:  global
        .offset:         40
        .size:           8
        .value_kind:     global_buffer
      - .offset:         48
        .size:           8
        .value_kind:     by_value
      - .offset:         56
        .size:           8
        .value_kind:     by_value
      - .offset:         64
        .size:           8
        .value_kind:     by_value
      - .address_space:  global
        .offset:         72
        .size:           8
        .value_kind:     global_buffer
      - .offset:         80
        .size:           8
        .value_kind:     by_value
      - .offset:         88
        .size:           4
        .value_kind:     by_value
    .group_segment_fixed_size: 256
    .kernarg_segment_align: 8
    .kernarg_segment_size: 92
    .language:       OpenCL C
    .language_version:
      - 2
      - 0
    .max_flat_workgroup_size: 512
    .name:           _ZL20rocblas_trmvt_kernelILi512ELb1ELb1ELb1EPK19rocblas_complex_numIfEPS1_S4_EviT3_lllT4_lllT5_li
    .private_segment_fixed_size: 0
    .sgpr_count:     29
    .sgpr_spill_count: 0
    .symbol:         _ZL20rocblas_trmvt_kernelILi512ELb1ELb1ELb1EPK19rocblas_complex_numIfEPS1_S4_EviT3_lllT4_lllT5_li.kd
    .uniform_work_group_size: 1
    .uses_dynamic_stack: false
    .vgpr_count:     13
    .vgpr_spill_count: 0
    .wavefront_size: 32
    .workgroup_processor_mode: 1
  - .args:
      - .offset:         0
        .size:           4
        .value_kind:     by_value
      - .address_space:  global
        .offset:         8
        .size:           8
        .value_kind:     global_buffer
      - .offset:         16
        .size:           8
        .value_kind:     by_value
      - .offset:         24
        .size:           8
        .value_kind:     by_value
      - .offset:         32
        .size:           8
        .value_kind:     by_value
      - .address_space:  global
        .offset:         40
        .size:           8
        .value_kind:     global_buffer
      - .offset:         48
        .size:           8
        .value_kind:     by_value
      - .offset:         56
        .size:           8
        .value_kind:     by_value
      - .offset:         64
        .size:           8
        .value_kind:     by_value
      - .address_space:  global
        .offset:         72
        .size:           8
        .value_kind:     global_buffer
      - .offset:         80
        .size:           8
        .value_kind:     by_value
      - .offset:         88
        .size:           4
        .value_kind:     by_value
      - .offset:         96
        .size:           4
        .value_kind:     hidden_block_count_x
      - .offset:         100
        .size:           4
        .value_kind:     hidden_block_count_y
      - .offset:         104
        .size:           4
        .value_kind:     hidden_block_count_z
      - .offset:         108
        .size:           2
        .value_kind:     hidden_group_size_x
      - .offset:         110
        .size:           2
        .value_kind:     hidden_group_size_y
      - .offset:         112
        .size:           2
        .value_kind:     hidden_group_size_z
      - .offset:         114
        .size:           2
        .value_kind:     hidden_remainder_x
      - .offset:         116
        .size:           2
        .value_kind:     hidden_remainder_y
      - .offset:         118
        .size:           2
        .value_kind:     hidden_remainder_z
      - .offset:         136
        .size:           8
        .value_kind:     hidden_global_offset_x
      - .offset:         144
        .size:           8
        .value_kind:     hidden_global_offset_y
      - .offset:         152
        .size:           8
        .value_kind:     hidden_global_offset_z
      - .offset:         160
        .size:           2
        .value_kind:     hidden_grid_dims
    .group_segment_fixed_size: 8192
    .kernarg_segment_align: 8
    .kernarg_segment_size: 352
    .language:       OpenCL C
    .language_version:
      - 2
      - 0
    .max_flat_workgroup_size: 1024
    .name:           _ZL20rocblas_trmvn_kernelILi64ELi16ELb1ELb0EPK19rocblas_complex_numIfEPS1_S4_EviT3_lllT4_lllT5_li
    .private_segment_fixed_size: 0
    .sgpr_count:     29
    .sgpr_spill_count: 0
    .symbol:         _ZL20rocblas_trmvn_kernelILi64ELi16ELb1ELb0EPK19rocblas_complex_numIfEPS1_S4_EviT3_lllT4_lllT5_li.kd
    .uniform_work_group_size: 1
    .uses_dynamic_stack: false
    .vgpr_count:     16
    .vgpr_spill_count: 0
    .wavefront_size: 32
    .workgroup_processor_mode: 1
  - .args:
      - .offset:         0
        .size:           4
        .value_kind:     by_value
      - .address_space:  global
        .offset:         8
        .size:           8
        .value_kind:     global_buffer
      - .offset:         16
        .size:           8
        .value_kind:     by_value
      - .offset:         24
        .size:           8
        .value_kind:     by_value
      - .offset:         32
        .size:           8
        .value_kind:     by_value
      - .address_space:  global
        .offset:         40
        .size:           8
        .value_kind:     global_buffer
      - .offset:         48
        .size:           8
        .value_kind:     by_value
      - .offset:         56
        .size:           8
        .value_kind:     by_value
      - .offset:         64
        .size:           8
        .value_kind:     by_value
      - .address_space:  global
        .offset:         72
        .size:           8
        .value_kind:     global_buffer
      - .offset:         80
        .size:           8
        .value_kind:     by_value
      - .offset:         88
        .size:           4
        .value_kind:     by_value
    .group_segment_fixed_size: 256
    .kernarg_segment_align: 8
    .kernarg_segment_size: 92
    .language:       OpenCL C
    .language_version:
      - 2
      - 0
    .max_flat_workgroup_size: 512
    .name:           _ZL20rocblas_trmvt_kernelILi512ELb1ELb0ELb0EPK19rocblas_complex_numIfEPS1_S4_EviT3_lllT4_lllT5_li
    .private_segment_fixed_size: 0
    .sgpr_count:     27
    .sgpr_spill_count: 0
    .symbol:         _ZL20rocblas_trmvt_kernelILi512ELb1ELb0ELb0EPK19rocblas_complex_numIfEPS1_S4_EviT3_lllT4_lllT5_li.kd
    .uniform_work_group_size: 1
    .uses_dynamic_stack: false
    .vgpr_count:     13
    .vgpr_spill_count: 0
    .wavefront_size: 32
    .workgroup_processor_mode: 1
  - .args:
      - .offset:         0
        .size:           4
        .value_kind:     by_value
      - .address_space:  global
        .offset:         8
        .size:           8
        .value_kind:     global_buffer
      - .offset:         16
        .size:           8
        .value_kind:     by_value
      - .offset:         24
        .size:           8
        .value_kind:     by_value
      - .offset:         32
        .size:           8
        .value_kind:     by_value
      - .address_space:  global
        .offset:         40
        .size:           8
        .value_kind:     global_buffer
      - .offset:         48
        .size:           8
        .value_kind:     by_value
      - .offset:         56
        .size:           8
        .value_kind:     by_value
      - .offset:         64
        .size:           8
        .value_kind:     by_value
      - .address_space:  global
        .offset:         72
        .size:           8
        .value_kind:     global_buffer
      - .offset:         80
        .size:           8
        .value_kind:     by_value
      - .offset:         88
        .size:           4
        .value_kind:     by_value
    .group_segment_fixed_size: 256
    .kernarg_segment_align: 8
    .kernarg_segment_size: 92
    .language:       OpenCL C
    .language_version:
      - 2
      - 0
    .max_flat_workgroup_size: 512
    .name:           _ZL20rocblas_trmvt_kernelILi512ELb1ELb1ELb0EPK19rocblas_complex_numIfEPS1_S4_EviT3_lllT4_lllT5_li
    .private_segment_fixed_size: 0
    .sgpr_count:     32
    .sgpr_spill_count: 0
    .symbol:         _ZL20rocblas_trmvt_kernelILi512ELb1ELb1ELb0EPK19rocblas_complex_numIfEPS1_S4_EviT3_lllT4_lllT5_li.kd
    .uniform_work_group_size: 1
    .uses_dynamic_stack: false
    .vgpr_count:     13
    .vgpr_spill_count: 0
    .wavefront_size: 32
    .workgroup_processor_mode: 1
  - .args:
      - .offset:         0
        .size:           4
        .value_kind:     by_value
      - .address_space:  global
        .offset:         8
        .size:           8
        .value_kind:     global_buffer
      - .offset:         16
        .size:           8
        .value_kind:     by_value
      - .offset:         24
        .size:           8
        .value_kind:     by_value
      - .offset:         32
        .size:           8
        .value_kind:     by_value
      - .address_space:  global
        .offset:         40
        .size:           8
        .value_kind:     global_buffer
      - .offset:         48
        .size:           8
        .value_kind:     by_value
      - .offset:         56
        .size:           8
        .value_kind:     by_value
      - .offset:         64
        .size:           8
        .value_kind:     by_value
      - .address_space:  global
        .offset:         72
        .size:           8
        .value_kind:     global_buffer
      - .offset:         80
        .size:           8
        .value_kind:     by_value
      - .offset:         88
        .size:           4
        .value_kind:     by_value
      - .offset:         96
        .size:           4
        .value_kind:     hidden_block_count_x
      - .offset:         100
        .size:           4
        .value_kind:     hidden_block_count_y
      - .offset:         104
        .size:           4
        .value_kind:     hidden_block_count_z
      - .offset:         108
        .size:           2
        .value_kind:     hidden_group_size_x
      - .offset:         110
        .size:           2
        .value_kind:     hidden_group_size_y
      - .offset:         112
        .size:           2
        .value_kind:     hidden_group_size_z
      - .offset:         114
        .size:           2
        .value_kind:     hidden_remainder_x
      - .offset:         116
        .size:           2
        .value_kind:     hidden_remainder_y
      - .offset:         118
        .size:           2
        .value_kind:     hidden_remainder_z
      - .offset:         136
        .size:           8
        .value_kind:     hidden_global_offset_x
      - .offset:         144
        .size:           8
        .value_kind:     hidden_global_offset_y
      - .offset:         152
        .size:           8
        .value_kind:     hidden_global_offset_z
      - .offset:         160
        .size:           2
        .value_kind:     hidden_grid_dims
    .group_segment_fixed_size: 16384
    .kernarg_segment_align: 8
    .kernarg_segment_size: 352
    .language:       OpenCL C
    .language_version:
      - 2
      - 0
    .max_flat_workgroup_size: 1024
    .name:           _ZL20rocblas_trmvn_kernelILi64ELi16ELb0ELb1EPK19rocblas_complex_numIdEPS1_S4_EviT3_lllT4_lllT5_li
    .private_segment_fixed_size: 0
    .sgpr_count:     27
    .sgpr_spill_count: 0
    .symbol:         _ZL20rocblas_trmvn_kernelILi64ELi16ELb0ELb1EPK19rocblas_complex_numIdEPS1_S4_EviT3_lllT4_lllT5_li.kd
    .uniform_work_group_size: 1
    .uses_dynamic_stack: false
    .vgpr_count:     22
    .vgpr_spill_count: 0
    .wavefront_size: 32
    .workgroup_processor_mode: 1
  - .args:
      - .offset:         0
        .size:           4
        .value_kind:     by_value
      - .address_space:  global
        .offset:         8
        .size:           8
        .value_kind:     global_buffer
      - .offset:         16
        .size:           8
        .value_kind:     by_value
      - .offset:         24
        .size:           8
        .value_kind:     by_value
      - .offset:         32
        .size:           8
        .value_kind:     by_value
      - .address_space:  global
        .offset:         40
        .size:           8
        .value_kind:     global_buffer
      - .offset:         48
        .size:           8
        .value_kind:     by_value
      - .offset:         56
        .size:           8
        .value_kind:     by_value
      - .offset:         64
        .size:           8
        .value_kind:     by_value
      - .address_space:  global
        .offset:         72
        .size:           8
        .value_kind:     global_buffer
      - .offset:         80
        .size:           8
        .value_kind:     by_value
      - .offset:         88
        .size:           4
        .value_kind:     by_value
    .group_segment_fixed_size: 512
    .kernarg_segment_align: 8
    .kernarg_segment_size: 92
    .language:       OpenCL C
    .language_version:
      - 2
      - 0
    .max_flat_workgroup_size: 512
    .name:           _ZL20rocblas_trmvt_kernelILi512ELb0ELb0ELb1EPK19rocblas_complex_numIdEPS1_S4_EviT3_lllT4_lllT5_li
    .private_segment_fixed_size: 0
    .sgpr_count:     30
    .sgpr_spill_count: 0
    .symbol:         _ZL20rocblas_trmvt_kernelILi512ELb0ELb0ELb1EPK19rocblas_complex_numIdEPS1_S4_EviT3_lllT4_lllT5_li.kd
    .uniform_work_group_size: 1
    .uses_dynamic_stack: false
    .vgpr_count:     20
    .vgpr_spill_count: 0
    .wavefront_size: 32
    .workgroup_processor_mode: 1
  - .args:
      - .offset:         0
        .size:           4
        .value_kind:     by_value
      - .address_space:  global
        .offset:         8
        .size:           8
        .value_kind:     global_buffer
      - .offset:         16
        .size:           8
        .value_kind:     by_value
      - .offset:         24
        .size:           8
        .value_kind:     by_value
      - .offset:         32
        .size:           8
        .value_kind:     by_value
      - .address_space:  global
        .offset:         40
        .size:           8
        .value_kind:     global_buffer
      - .offset:         48
        .size:           8
        .value_kind:     by_value
      - .offset:         56
        .size:           8
        .value_kind:     by_value
      - .offset:         64
        .size:           8
        .value_kind:     by_value
      - .address_space:  global
        .offset:         72
        .size:           8
        .value_kind:     global_buffer
      - .offset:         80
        .size:           8
        .value_kind:     by_value
      - .offset:         88
        .size:           4
        .value_kind:     by_value
    .group_segment_fixed_size: 512
    .kernarg_segment_align: 8
    .kernarg_segment_size: 92
    .language:       OpenCL C
    .language_version:
      - 2
      - 0
    .max_flat_workgroup_size: 512
    .name:           _ZL20rocblas_trmvt_kernelILi512ELb0ELb1ELb1EPK19rocblas_complex_numIdEPS1_S4_EviT3_lllT4_lllT5_li
    .private_segment_fixed_size: 0
    .sgpr_count:     30
    .sgpr_spill_count: 0
    .symbol:         _ZL20rocblas_trmvt_kernelILi512ELb0ELb1ELb1EPK19rocblas_complex_numIdEPS1_S4_EviT3_lllT4_lllT5_li.kd
    .uniform_work_group_size: 1
    .uses_dynamic_stack: false
    .vgpr_count:     20
    .vgpr_spill_count: 0
    .wavefront_size: 32
    .workgroup_processor_mode: 1
  - .args:
      - .offset:         0
        .size:           4
        .value_kind:     by_value
      - .address_space:  global
        .offset:         8
        .size:           8
        .value_kind:     global_buffer
      - .offset:         16
        .size:           8
        .value_kind:     by_value
      - .offset:         24
        .size:           8
        .value_kind:     by_value
      - .offset:         32
        .size:           8
        .value_kind:     by_value
      - .address_space:  global
        .offset:         40
        .size:           8
        .value_kind:     global_buffer
      - .offset:         48
        .size:           8
        .value_kind:     by_value
      - .offset:         56
        .size:           8
        .value_kind:     by_value
      - .offset:         64
        .size:           8
        .value_kind:     by_value
      - .address_space:  global
        .offset:         72
        .size:           8
        .value_kind:     global_buffer
      - .offset:         80
        .size:           8
        .value_kind:     by_value
      - .offset:         88
        .size:           4
        .value_kind:     by_value
      - .offset:         96
        .size:           4
        .value_kind:     hidden_block_count_x
      - .offset:         100
        .size:           4
        .value_kind:     hidden_block_count_y
      - .offset:         104
        .size:           4
        .value_kind:     hidden_block_count_z
      - .offset:         108
        .size:           2
        .value_kind:     hidden_group_size_x
      - .offset:         110
        .size:           2
        .value_kind:     hidden_group_size_y
      - .offset:         112
        .size:           2
        .value_kind:     hidden_group_size_z
      - .offset:         114
        .size:           2
        .value_kind:     hidden_remainder_x
      - .offset:         116
        .size:           2
        .value_kind:     hidden_remainder_y
      - .offset:         118
        .size:           2
        .value_kind:     hidden_remainder_z
      - .offset:         136
        .size:           8
        .value_kind:     hidden_global_offset_x
      - .offset:         144
        .size:           8
        .value_kind:     hidden_global_offset_y
      - .offset:         152
        .size:           8
        .value_kind:     hidden_global_offset_z
      - .offset:         160
        .size:           2
        .value_kind:     hidden_grid_dims
    .group_segment_fixed_size: 16384
    .kernarg_segment_align: 8
    .kernarg_segment_size: 352
    .language:       OpenCL C
    .language_version:
      - 2
      - 0
    .max_flat_workgroup_size: 1024
    .name:           _ZL20rocblas_trmvn_kernelILi64ELi16ELb0ELb0EPK19rocblas_complex_numIdEPS1_S4_EviT3_lllT4_lllT5_li
    .private_segment_fixed_size: 0
    .sgpr_count:     29
    .sgpr_spill_count: 0
    .symbol:         _ZL20rocblas_trmvn_kernelILi64ELi16ELb0ELb0EPK19rocblas_complex_numIdEPS1_S4_EviT3_lllT4_lllT5_li.kd
    .uniform_work_group_size: 1
    .uses_dynamic_stack: false
    .vgpr_count:     22
    .vgpr_spill_count: 0
    .wavefront_size: 32
    .workgroup_processor_mode: 1
  - .args:
      - .offset:         0
        .size:           4
        .value_kind:     by_value
      - .address_space:  global
        .offset:         8
        .size:           8
        .value_kind:     global_buffer
      - .offset:         16
        .size:           8
        .value_kind:     by_value
      - .offset:         24
        .size:           8
        .value_kind:     by_value
      - .offset:         32
        .size:           8
        .value_kind:     by_value
      - .address_space:  global
        .offset:         40
        .size:           8
        .value_kind:     global_buffer
      - .offset:         48
        .size:           8
        .value_kind:     by_value
      - .offset:         56
        .size:           8
        .value_kind:     by_value
      - .offset:         64
        .size:           8
        .value_kind:     by_value
      - .address_space:  global
        .offset:         72
        .size:           8
        .value_kind:     global_buffer
      - .offset:         80
        .size:           8
        .value_kind:     by_value
      - .offset:         88
        .size:           4
        .value_kind:     by_value
    .group_segment_fixed_size: 512
    .kernarg_segment_align: 8
    .kernarg_segment_size: 92
    .language:       OpenCL C
    .language_version:
      - 2
      - 0
    .max_flat_workgroup_size: 512
    .name:           _ZL20rocblas_trmvt_kernelILi512ELb0ELb0ELb0EPK19rocblas_complex_numIdEPS1_S4_EviT3_lllT4_lllT5_li
    .private_segment_fixed_size: 0
    .sgpr_count:     34
    .sgpr_spill_count: 0
    .symbol:         _ZL20rocblas_trmvt_kernelILi512ELb0ELb0ELb0EPK19rocblas_complex_numIdEPS1_S4_EviT3_lllT4_lllT5_li.kd
    .uniform_work_group_size: 1
    .uses_dynamic_stack: false
    .vgpr_count:     20
    .vgpr_spill_count: 0
    .wavefront_size: 32
    .workgroup_processor_mode: 1
  - .args:
      - .offset:         0
        .size:           4
        .value_kind:     by_value
      - .address_space:  global
        .offset:         8
        .size:           8
        .value_kind:     global_buffer
      - .offset:         16
        .size:           8
        .value_kind:     by_value
      - .offset:         24
        .size:           8
        .value_kind:     by_value
      - .offset:         32
        .size:           8
        .value_kind:     by_value
      - .address_space:  global
        .offset:         40
        .size:           8
        .value_kind:     global_buffer
      - .offset:         48
        .size:           8
        .value_kind:     by_value
      - .offset:         56
        .size:           8
        .value_kind:     by_value
      - .offset:         64
        .size:           8
        .value_kind:     by_value
      - .address_space:  global
        .offset:         72
        .size:           8
        .value_kind:     global_buffer
      - .offset:         80
        .size:           8
        .value_kind:     by_value
      - .offset:         88
        .size:           4
        .value_kind:     by_value
    .group_segment_fixed_size: 512
    .kernarg_segment_align: 8
    .kernarg_segment_size: 92
    .language:       OpenCL C
    .language_version:
      - 2
      - 0
    .max_flat_workgroup_size: 512
    .name:           _ZL20rocblas_trmvt_kernelILi512ELb0ELb1ELb0EPK19rocblas_complex_numIdEPS1_S4_EviT3_lllT4_lllT5_li
    .private_segment_fixed_size: 0
    .sgpr_count:     34
    .sgpr_spill_count: 0
    .symbol:         _ZL20rocblas_trmvt_kernelILi512ELb0ELb1ELb0EPK19rocblas_complex_numIdEPS1_S4_EviT3_lllT4_lllT5_li.kd
    .uniform_work_group_size: 1
    .uses_dynamic_stack: false
    .vgpr_count:     20
    .vgpr_spill_count: 0
    .wavefront_size: 32
    .workgroup_processor_mode: 1
  - .args:
      - .offset:         0
        .size:           4
        .value_kind:     by_value
      - .address_space:  global
        .offset:         8
        .size:           8
        .value_kind:     global_buffer
      - .offset:         16
        .size:           8
        .value_kind:     by_value
      - .offset:         24
        .size:           8
        .value_kind:     by_value
      - .offset:         32
        .size:           8
        .value_kind:     by_value
      - .address_space:  global
        .offset:         40
        .size:           8
        .value_kind:     global_buffer
      - .offset:         48
        .size:           8
        .value_kind:     by_value
      - .offset:         56
        .size:           8
        .value_kind:     by_value
      - .offset:         64
        .size:           8
        .value_kind:     by_value
      - .address_space:  global
        .offset:         72
        .size:           8
        .value_kind:     global_buffer
      - .offset:         80
        .size:           8
        .value_kind:     by_value
      - .offset:         88
        .size:           4
        .value_kind:     by_value
      - .offset:         96
        .size:           4
        .value_kind:     hidden_block_count_x
      - .offset:         100
        .size:           4
        .value_kind:     hidden_block_count_y
      - .offset:         104
        .size:           4
        .value_kind:     hidden_block_count_z
      - .offset:         108
        .size:           2
        .value_kind:     hidden_group_size_x
      - .offset:         110
        .size:           2
        .value_kind:     hidden_group_size_y
      - .offset:         112
        .size:           2
        .value_kind:     hidden_group_size_z
      - .offset:         114
        .size:           2
        .value_kind:     hidden_remainder_x
      - .offset:         116
        .size:           2
        .value_kind:     hidden_remainder_y
      - .offset:         118
        .size:           2
        .value_kind:     hidden_remainder_z
      - .offset:         136
        .size:           8
        .value_kind:     hidden_global_offset_x
      - .offset:         144
        .size:           8
        .value_kind:     hidden_global_offset_y
      - .offset:         152
        .size:           8
        .value_kind:     hidden_global_offset_z
      - .offset:         160
        .size:           2
        .value_kind:     hidden_grid_dims
    .group_segment_fixed_size: 16384
    .kernarg_segment_align: 8
    .kernarg_segment_size: 352
    .language:       OpenCL C
    .language_version:
      - 2
      - 0
    .max_flat_workgroup_size: 1024
    .name:           _ZL20rocblas_trmvn_kernelILi64ELi16ELb1ELb1EPK19rocblas_complex_numIdEPS1_S4_EviT3_lllT4_lllT5_li
    .private_segment_fixed_size: 0
    .sgpr_count:     27
    .sgpr_spill_count: 0
    .symbol:         _ZL20rocblas_trmvn_kernelILi64ELi16ELb1ELb1EPK19rocblas_complex_numIdEPS1_S4_EviT3_lllT4_lllT5_li.kd
    .uniform_work_group_size: 1
    .uses_dynamic_stack: false
    .vgpr_count:     22
    .vgpr_spill_count: 0
    .wavefront_size: 32
    .workgroup_processor_mode: 1
  - .args:
      - .offset:         0
        .size:           4
        .value_kind:     by_value
      - .address_space:  global
        .offset:         8
        .size:           8
        .value_kind:     global_buffer
      - .offset:         16
        .size:           8
        .value_kind:     by_value
      - .offset:         24
        .size:           8
        .value_kind:     by_value
      - .offset:         32
        .size:           8
        .value_kind:     by_value
      - .address_space:  global
        .offset:         40
        .size:           8
        .value_kind:     global_buffer
      - .offset:         48
        .size:           8
        .value_kind:     by_value
      - .offset:         56
        .size:           8
        .value_kind:     by_value
      - .offset:         64
        .size:           8
        .value_kind:     by_value
      - .address_space:  global
        .offset:         72
        .size:           8
        .value_kind:     global_buffer
      - .offset:         80
        .size:           8
        .value_kind:     by_value
      - .offset:         88
        .size:           4
        .value_kind:     by_value
    .group_segment_fixed_size: 512
    .kernarg_segment_align: 8
    .kernarg_segment_size: 92
    .language:       OpenCL C
    .language_version:
      - 2
      - 0
    .max_flat_workgroup_size: 512
    .name:           _ZL20rocblas_trmvt_kernelILi512ELb1ELb0ELb1EPK19rocblas_complex_numIdEPS1_S4_EviT3_lllT4_lllT5_li
    .private_segment_fixed_size: 0
    .sgpr_count:     30
    .sgpr_spill_count: 0
    .symbol:         _ZL20rocblas_trmvt_kernelILi512ELb1ELb0ELb1EPK19rocblas_complex_numIdEPS1_S4_EviT3_lllT4_lllT5_li.kd
    .uniform_work_group_size: 1
    .uses_dynamic_stack: false
    .vgpr_count:     20
    .vgpr_spill_count: 0
    .wavefront_size: 32
    .workgroup_processor_mode: 1
  - .args:
      - .offset:         0
        .size:           4
        .value_kind:     by_value
      - .address_space:  global
        .offset:         8
        .size:           8
        .value_kind:     global_buffer
      - .offset:         16
        .size:           8
        .value_kind:     by_value
      - .offset:         24
        .size:           8
        .value_kind:     by_value
      - .offset:         32
        .size:           8
        .value_kind:     by_value
      - .address_space:  global
        .offset:         40
        .size:           8
        .value_kind:     global_buffer
      - .offset:         48
        .size:           8
        .value_kind:     by_value
      - .offset:         56
        .size:           8
        .value_kind:     by_value
      - .offset:         64
        .size:           8
        .value_kind:     by_value
      - .address_space:  global
        .offset:         72
        .size:           8
        .value_kind:     global_buffer
      - .offset:         80
        .size:           8
        .value_kind:     by_value
      - .offset:         88
        .size:           4
        .value_kind:     by_value
    .group_segment_fixed_size: 512
    .kernarg_segment_align: 8
    .kernarg_segment_size: 92
    .language:       OpenCL C
    .language_version:
      - 2
      - 0
    .max_flat_workgroup_size: 512
    .name:           _ZL20rocblas_trmvt_kernelILi512ELb1ELb1ELb1EPK19rocblas_complex_numIdEPS1_S4_EviT3_lllT4_lllT5_li
    .private_segment_fixed_size: 0
    .sgpr_count:     30
    .sgpr_spill_count: 0
    .symbol:         _ZL20rocblas_trmvt_kernelILi512ELb1ELb1ELb1EPK19rocblas_complex_numIdEPS1_S4_EviT3_lllT4_lllT5_li.kd
    .uniform_work_group_size: 1
    .uses_dynamic_stack: false
    .vgpr_count:     20
    .vgpr_spill_count: 0
    .wavefront_size: 32
    .workgroup_processor_mode: 1
  - .args:
      - .offset:         0
        .size:           4
        .value_kind:     by_value
      - .address_space:  global
        .offset:         8
        .size:           8
        .value_kind:     global_buffer
      - .offset:         16
        .size:           8
        .value_kind:     by_value
      - .offset:         24
        .size:           8
        .value_kind:     by_value
      - .offset:         32
        .size:           8
        .value_kind:     by_value
      - .address_space:  global
        .offset:         40
        .size:           8
        .value_kind:     global_buffer
      - .offset:         48
        .size:           8
        .value_kind:     by_value
      - .offset:         56
        .size:           8
        .value_kind:     by_value
      - .offset:         64
        .size:           8
        .value_kind:     by_value
      - .address_space:  global
        .offset:         72
        .size:           8
        .value_kind:     global_buffer
      - .offset:         80
        .size:           8
        .value_kind:     by_value
      - .offset:         88
        .size:           4
        .value_kind:     by_value
      - .offset:         96
        .size:           4
        .value_kind:     hidden_block_count_x
      - .offset:         100
        .size:           4
        .value_kind:     hidden_block_count_y
      - .offset:         104
        .size:           4
        .value_kind:     hidden_block_count_z
      - .offset:         108
        .size:           2
        .value_kind:     hidden_group_size_x
      - .offset:         110
        .size:           2
        .value_kind:     hidden_group_size_y
      - .offset:         112
        .size:           2
        .value_kind:     hidden_group_size_z
      - .offset:         114
        .size:           2
        .value_kind:     hidden_remainder_x
      - .offset:         116
        .size:           2
        .value_kind:     hidden_remainder_y
      - .offset:         118
        .size:           2
        .value_kind:     hidden_remainder_z
      - .offset:         136
        .size:           8
        .value_kind:     hidden_global_offset_x
      - .offset:         144
        .size:           8
        .value_kind:     hidden_global_offset_y
      - .offset:         152
        .size:           8
        .value_kind:     hidden_global_offset_z
      - .offset:         160
        .size:           2
        .value_kind:     hidden_grid_dims
    .group_segment_fixed_size: 16384
    .kernarg_segment_align: 8
    .kernarg_segment_size: 352
    .language:       OpenCL C
    .language_version:
      - 2
      - 0
    .max_flat_workgroup_size: 1024
    .name:           _ZL20rocblas_trmvn_kernelILi64ELi16ELb1ELb0EPK19rocblas_complex_numIdEPS1_S4_EviT3_lllT4_lllT5_li
    .private_segment_fixed_size: 0
    .sgpr_count:     29
    .sgpr_spill_count: 0
    .symbol:         _ZL20rocblas_trmvn_kernelILi64ELi16ELb1ELb0EPK19rocblas_complex_numIdEPS1_S4_EviT3_lllT4_lllT5_li.kd
    .uniform_work_group_size: 1
    .uses_dynamic_stack: false
    .vgpr_count:     22
    .vgpr_spill_count: 0
    .wavefront_size: 32
    .workgroup_processor_mode: 1
  - .args:
      - .offset:         0
        .size:           4
        .value_kind:     by_value
      - .address_space:  global
        .offset:         8
        .size:           8
        .value_kind:     global_buffer
      - .offset:         16
        .size:           8
        .value_kind:     by_value
      - .offset:         24
        .size:           8
        .value_kind:     by_value
      - .offset:         32
        .size:           8
        .value_kind:     by_value
      - .address_space:  global
        .offset:         40
        .size:           8
        .value_kind:     global_buffer
      - .offset:         48
        .size:           8
        .value_kind:     by_value
      - .offset:         56
        .size:           8
        .value_kind:     by_value
      - .offset:         64
        .size:           8
        .value_kind:     by_value
      - .address_space:  global
        .offset:         72
        .size:           8
        .value_kind:     global_buffer
      - .offset:         80
        .size:           8
        .value_kind:     by_value
      - .offset:         88
        .size:           4
        .value_kind:     by_value
    .group_segment_fixed_size: 512
    .kernarg_segment_align: 8
    .kernarg_segment_size: 92
    .language:       OpenCL C
    .language_version:
      - 2
      - 0
    .max_flat_workgroup_size: 512
    .name:           _ZL20rocblas_trmvt_kernelILi512ELb1ELb0ELb0EPK19rocblas_complex_numIdEPS1_S4_EviT3_lllT4_lllT5_li
    .private_segment_fixed_size: 0
    .sgpr_count:     34
    .sgpr_spill_count: 0
    .symbol:         _ZL20rocblas_trmvt_kernelILi512ELb1ELb0ELb0EPK19rocblas_complex_numIdEPS1_S4_EviT3_lllT4_lllT5_li.kd
    .uniform_work_group_size: 1
    .uses_dynamic_stack: false
    .vgpr_count:     20
    .vgpr_spill_count: 0
    .wavefront_size: 32
    .workgroup_processor_mode: 1
  - .args:
      - .offset:         0
        .size:           4
        .value_kind:     by_value
      - .address_space:  global
        .offset:         8
        .size:           8
        .value_kind:     global_buffer
      - .offset:         16
        .size:           8
        .value_kind:     by_value
      - .offset:         24
        .size:           8
        .value_kind:     by_value
      - .offset:         32
        .size:           8
        .value_kind:     by_value
      - .address_space:  global
        .offset:         40
        .size:           8
        .value_kind:     global_buffer
      - .offset:         48
        .size:           8
        .value_kind:     by_value
      - .offset:         56
        .size:           8
        .value_kind:     by_value
      - .offset:         64
        .size:           8
        .value_kind:     by_value
      - .address_space:  global
        .offset:         72
        .size:           8
        .value_kind:     global_buffer
      - .offset:         80
        .size:           8
        .value_kind:     by_value
      - .offset:         88
        .size:           4
        .value_kind:     by_value
    .group_segment_fixed_size: 512
    .kernarg_segment_align: 8
    .kernarg_segment_size: 92
    .language:       OpenCL C
    .language_version:
      - 2
      - 0
    .max_flat_workgroup_size: 512
    .name:           _ZL20rocblas_trmvt_kernelILi512ELb1ELb1ELb0EPK19rocblas_complex_numIdEPS1_S4_EviT3_lllT4_lllT5_li
    .private_segment_fixed_size: 0
    .sgpr_count:     34
    .sgpr_spill_count: 0
    .symbol:         _ZL20rocblas_trmvt_kernelILi512ELb1ELb1ELb0EPK19rocblas_complex_numIdEPS1_S4_EviT3_lllT4_lllT5_li.kd
    .uniform_work_group_size: 1
    .uses_dynamic_stack: false
    .vgpr_count:     20
    .vgpr_spill_count: 0
    .wavefront_size: 32
    .workgroup_processor_mode: 1
  - .args:
      - .offset:         0
        .size:           4
        .value_kind:     by_value
      - .address_space:  global
        .offset:         8
        .size:           8
        .value_kind:     global_buffer
      - .offset:         16
        .size:           8
        .value_kind:     by_value
      - .offset:         24
        .size:           8
        .value_kind:     by_value
      - .offset:         32
        .size:           8
        .value_kind:     by_value
      - .address_space:  global
        .offset:         40
        .size:           8
        .value_kind:     global_buffer
      - .offset:         48
        .size:           8
        .value_kind:     by_value
      - .offset:         56
        .size:           8
        .value_kind:     by_value
      - .offset:         64
        .size:           8
        .value_kind:     by_value
      - .address_space:  global
        .offset:         72
        .size:           8
        .value_kind:     global_buffer
      - .offset:         80
        .size:           8
        .value_kind:     by_value
      - .offset:         88
        .size:           4
        .value_kind:     by_value
      - .offset:         96
        .size:           4
        .value_kind:     hidden_block_count_x
      - .offset:         100
        .size:           4
        .value_kind:     hidden_block_count_y
      - .offset:         104
        .size:           4
        .value_kind:     hidden_block_count_z
      - .offset:         108
        .size:           2
        .value_kind:     hidden_group_size_x
      - .offset:         110
        .size:           2
        .value_kind:     hidden_group_size_y
      - .offset:         112
        .size:           2
        .value_kind:     hidden_group_size_z
      - .offset:         114
        .size:           2
        .value_kind:     hidden_remainder_x
      - .offset:         116
        .size:           2
        .value_kind:     hidden_remainder_y
      - .offset:         118
        .size:           2
        .value_kind:     hidden_remainder_z
      - .offset:         136
        .size:           8
        .value_kind:     hidden_global_offset_x
      - .offset:         144
        .size:           8
        .value_kind:     hidden_global_offset_y
      - .offset:         152
        .size:           8
        .value_kind:     hidden_global_offset_z
      - .offset:         160
        .size:           2
        .value_kind:     hidden_grid_dims
    .group_segment_fixed_size: 4096
    .kernarg_segment_align: 8
    .kernarg_segment_size: 352
    .language:       OpenCL C
    .language_version:
      - 2
      - 0
    .max_flat_workgroup_size: 1024
    .name:           _ZL20rocblas_trmvn_kernelILi64ELi16ELb0ELb1EPKPKfPKPfS4_EviT3_lllT4_lllT5_li
    .private_segment_fixed_size: 0
    .sgpr_count:     24
    .sgpr_spill_count: 0
    .symbol:         _ZL20rocblas_trmvn_kernelILi64ELi16ELb0ELb1EPKPKfPKPfS4_EviT3_lllT4_lllT5_li.kd
    .uniform_work_group_size: 1
    .uses_dynamic_stack: false
    .vgpr_count:     12
    .vgpr_spill_count: 0
    .wavefront_size: 32
    .workgroup_processor_mode: 1
  - .args:
      - .offset:         0
        .size:           4
        .value_kind:     by_value
      - .address_space:  global
        .offset:         8
        .size:           8
        .value_kind:     global_buffer
      - .offset:         16
        .size:           8
        .value_kind:     by_value
      - .offset:         24
        .size:           8
        .value_kind:     by_value
      - .offset:         32
        .size:           8
        .value_kind:     by_value
      - .address_space:  global
        .offset:         40
        .size:           8
        .value_kind:     global_buffer
      - .offset:         48
        .size:           8
        .value_kind:     by_value
      - .offset:         56
        .size:           8
        .value_kind:     by_value
      - .offset:         64
        .size:           8
        .value_kind:     by_value
      - .address_space:  global
        .offset:         72
        .size:           8
        .value_kind:     global_buffer
      - .offset:         80
        .size:           8
        .value_kind:     by_value
      - .offset:         88
        .size:           4
        .value_kind:     by_value
    .group_segment_fixed_size: 128
    .kernarg_segment_align: 8
    .kernarg_segment_size: 92
    .language:       OpenCL C
    .language_version:
      - 2
      - 0
    .max_flat_workgroup_size: 512
    .name:           _ZL20rocblas_trmvt_kernelILi512ELb0ELb0ELb1EPKPKfPKPfS4_EviT3_lllT4_lllT5_li
    .private_segment_fixed_size: 0
    .sgpr_count:     24
    .sgpr_spill_count: 0
    .symbol:         _ZL20rocblas_trmvt_kernelILi512ELb0ELb0ELb1EPKPKfPKPfS4_EviT3_lllT4_lllT5_li.kd
    .uniform_work_group_size: 1
    .uses_dynamic_stack: false
    .vgpr_count:     10
    .vgpr_spill_count: 0
    .wavefront_size: 32
    .workgroup_processor_mode: 1
  - .args:
      - .offset:         0
        .size:           4
        .value_kind:     by_value
      - .address_space:  global
        .offset:         8
        .size:           8
        .value_kind:     global_buffer
      - .offset:         16
        .size:           8
        .value_kind:     by_value
      - .offset:         24
        .size:           8
        .value_kind:     by_value
      - .offset:         32
        .size:           8
        .value_kind:     by_value
      - .address_space:  global
        .offset:         40
        .size:           8
        .value_kind:     global_buffer
      - .offset:         48
        .size:           8
        .value_kind:     by_value
      - .offset:         56
        .size:           8
        .value_kind:     by_value
      - .offset:         64
        .size:           8
        .value_kind:     by_value
      - .address_space:  global
        .offset:         72
        .size:           8
        .value_kind:     global_buffer
      - .offset:         80
        .size:           8
        .value_kind:     by_value
      - .offset:         88
        .size:           4
        .value_kind:     by_value
    .group_segment_fixed_size: 128
    .kernarg_segment_align: 8
    .kernarg_segment_size: 92
    .language:       OpenCL C
    .language_version:
      - 2
      - 0
    .max_flat_workgroup_size: 512
    .name:           _ZL20rocblas_trmvt_kernelILi512ELb0ELb1ELb1EPKPKfPKPfS4_EviT3_lllT4_lllT5_li
    .private_segment_fixed_size: 0
    .sgpr_count:     24
    .sgpr_spill_count: 0
    .symbol:         _ZL20rocblas_trmvt_kernelILi512ELb0ELb1ELb1EPKPKfPKPfS4_EviT3_lllT4_lllT5_li.kd
    .uniform_work_group_size: 1
    .uses_dynamic_stack: false
    .vgpr_count:     10
    .vgpr_spill_count: 0
    .wavefront_size: 32
    .workgroup_processor_mode: 1
  - .args:
      - .offset:         0
        .size:           4
        .value_kind:     by_value
      - .address_space:  global
        .offset:         8
        .size:           8
        .value_kind:     global_buffer
      - .offset:         16
        .size:           8
        .value_kind:     by_value
      - .offset:         24
        .size:           8
        .value_kind:     by_value
      - .offset:         32
        .size:           8
        .value_kind:     by_value
      - .address_space:  global
        .offset:         40
        .size:           8
        .value_kind:     global_buffer
      - .offset:         48
        .size:           8
        .value_kind:     by_value
      - .offset:         56
        .size:           8
        .value_kind:     by_value
      - .offset:         64
        .size:           8
        .value_kind:     by_value
      - .address_space:  global
        .offset:         72
        .size:           8
        .value_kind:     global_buffer
      - .offset:         80
        .size:           8
        .value_kind:     by_value
      - .offset:         88
        .size:           4
        .value_kind:     by_value
      - .offset:         96
        .size:           4
        .value_kind:     hidden_block_count_x
      - .offset:         100
        .size:           4
        .value_kind:     hidden_block_count_y
      - .offset:         104
        .size:           4
        .value_kind:     hidden_block_count_z
      - .offset:         108
        .size:           2
        .value_kind:     hidden_group_size_x
      - .offset:         110
        .size:           2
        .value_kind:     hidden_group_size_y
      - .offset:         112
        .size:           2
        .value_kind:     hidden_group_size_z
      - .offset:         114
        .size:           2
        .value_kind:     hidden_remainder_x
      - .offset:         116
        .size:           2
        .value_kind:     hidden_remainder_y
      - .offset:         118
        .size:           2
        .value_kind:     hidden_remainder_z
      - .offset:         136
        .size:           8
        .value_kind:     hidden_global_offset_x
      - .offset:         144
        .size:           8
        .value_kind:     hidden_global_offset_y
      - .offset:         152
        .size:           8
        .value_kind:     hidden_global_offset_z
      - .offset:         160
        .size:           2
        .value_kind:     hidden_grid_dims
    .group_segment_fixed_size: 4096
    .kernarg_segment_align: 8
    .kernarg_segment_size: 352
    .language:       OpenCL C
    .language_version:
      - 2
      - 0
    .max_flat_workgroup_size: 1024
    .name:           _ZL20rocblas_trmvn_kernelILi64ELi16ELb0ELb0EPKPKfPKPfS4_EviT3_lllT4_lllT5_li
    .private_segment_fixed_size: 0
    .sgpr_count:     24
    .sgpr_spill_count: 0
    .symbol:         _ZL20rocblas_trmvn_kernelILi64ELi16ELb0ELb0EPKPKfPKPfS4_EviT3_lllT4_lllT5_li.kd
    .uniform_work_group_size: 1
    .uses_dynamic_stack: false
    .vgpr_count:     12
    .vgpr_spill_count: 0
    .wavefront_size: 32
    .workgroup_processor_mode: 1
  - .args:
      - .offset:         0
        .size:           4
        .value_kind:     by_value
      - .address_space:  global
        .offset:         8
        .size:           8
        .value_kind:     global_buffer
      - .offset:         16
        .size:           8
        .value_kind:     by_value
      - .offset:         24
        .size:           8
        .value_kind:     by_value
      - .offset:         32
        .size:           8
        .value_kind:     by_value
      - .address_space:  global
        .offset:         40
        .size:           8
        .value_kind:     global_buffer
      - .offset:         48
        .size:           8
        .value_kind:     by_value
      - .offset:         56
        .size:           8
        .value_kind:     by_value
      - .offset:         64
        .size:           8
        .value_kind:     by_value
      - .address_space:  global
        .offset:         72
        .size:           8
        .value_kind:     global_buffer
      - .offset:         80
        .size:           8
        .value_kind:     by_value
      - .offset:         88
        .size:           4
        .value_kind:     by_value
    .group_segment_fixed_size: 128
    .kernarg_segment_align: 8
    .kernarg_segment_size: 92
    .language:       OpenCL C
    .language_version:
      - 2
      - 0
    .max_flat_workgroup_size: 512
    .name:           _ZL20rocblas_trmvt_kernelILi512ELb0ELb0ELb0EPKPKfPKPfS4_EviT3_lllT4_lllT5_li
    .private_segment_fixed_size: 0
    .sgpr_count:     24
    .sgpr_spill_count: 0
    .symbol:         _ZL20rocblas_trmvt_kernelILi512ELb0ELb0ELb0EPKPKfPKPfS4_EviT3_lllT4_lllT5_li.kd
    .uniform_work_group_size: 1
    .uses_dynamic_stack: false
    .vgpr_count:     10
    .vgpr_spill_count: 0
    .wavefront_size: 32
    .workgroup_processor_mode: 1
  - .args:
      - .offset:         0
        .size:           4
        .value_kind:     by_value
      - .address_space:  global
        .offset:         8
        .size:           8
        .value_kind:     global_buffer
      - .offset:         16
        .size:           8
        .value_kind:     by_value
      - .offset:         24
        .size:           8
        .value_kind:     by_value
      - .offset:         32
        .size:           8
        .value_kind:     by_value
      - .address_space:  global
        .offset:         40
        .size:           8
        .value_kind:     global_buffer
      - .offset:         48
        .size:           8
        .value_kind:     by_value
      - .offset:         56
        .size:           8
        .value_kind:     by_value
      - .offset:         64
        .size:           8
        .value_kind:     by_value
      - .address_space:  global
        .offset:         72
        .size:           8
        .value_kind:     global_buffer
      - .offset:         80
        .size:           8
        .value_kind:     by_value
      - .offset:         88
        .size:           4
        .value_kind:     by_value
    .group_segment_fixed_size: 128
    .kernarg_segment_align: 8
    .kernarg_segment_size: 92
    .language:       OpenCL C
    .language_version:
      - 2
      - 0
    .max_flat_workgroup_size: 512
    .name:           _ZL20rocblas_trmvt_kernelILi512ELb0ELb1ELb0EPKPKfPKPfS4_EviT3_lllT4_lllT5_li
    .private_segment_fixed_size: 0
    .sgpr_count:     24
    .sgpr_spill_count: 0
    .symbol:         _ZL20rocblas_trmvt_kernelILi512ELb0ELb1ELb0EPKPKfPKPfS4_EviT3_lllT4_lllT5_li.kd
    .uniform_work_group_size: 1
    .uses_dynamic_stack: false
    .vgpr_count:     10
    .vgpr_spill_count: 0
    .wavefront_size: 32
    .workgroup_processor_mode: 1
  - .args:
      - .offset:         0
        .size:           4
        .value_kind:     by_value
      - .address_space:  global
        .offset:         8
        .size:           8
        .value_kind:     global_buffer
      - .offset:         16
        .size:           8
        .value_kind:     by_value
      - .offset:         24
        .size:           8
        .value_kind:     by_value
      - .offset:         32
        .size:           8
        .value_kind:     by_value
      - .address_space:  global
        .offset:         40
        .size:           8
        .value_kind:     global_buffer
      - .offset:         48
        .size:           8
        .value_kind:     by_value
      - .offset:         56
        .size:           8
        .value_kind:     by_value
      - .offset:         64
        .size:           8
        .value_kind:     by_value
      - .address_space:  global
        .offset:         72
        .size:           8
        .value_kind:     global_buffer
      - .offset:         80
        .size:           8
        .value_kind:     by_value
      - .offset:         88
        .size:           4
        .value_kind:     by_value
      - .offset:         96
        .size:           4
        .value_kind:     hidden_block_count_x
      - .offset:         100
        .size:           4
        .value_kind:     hidden_block_count_y
      - .offset:         104
        .size:           4
        .value_kind:     hidden_block_count_z
      - .offset:         108
        .size:           2
        .value_kind:     hidden_group_size_x
      - .offset:         110
        .size:           2
        .value_kind:     hidden_group_size_y
      - .offset:         112
        .size:           2
        .value_kind:     hidden_group_size_z
      - .offset:         114
        .size:           2
        .value_kind:     hidden_remainder_x
      - .offset:         116
        .size:           2
        .value_kind:     hidden_remainder_y
      - .offset:         118
        .size:           2
        .value_kind:     hidden_remainder_z
      - .offset:         136
        .size:           8
        .value_kind:     hidden_global_offset_x
      - .offset:         144
        .size:           8
        .value_kind:     hidden_global_offset_y
      - .offset:         152
        .size:           8
        .value_kind:     hidden_global_offset_z
      - .offset:         160
        .size:           2
        .value_kind:     hidden_grid_dims
    .group_segment_fixed_size: 4096
    .kernarg_segment_align: 8
    .kernarg_segment_size: 352
    .language:       OpenCL C
    .language_version:
      - 2
      - 0
    .max_flat_workgroup_size: 1024
    .name:           _ZL20rocblas_trmvn_kernelILi64ELi16ELb1ELb1EPKPKfPKPfS4_EviT3_lllT4_lllT5_li
    .private_segment_fixed_size: 0
    .sgpr_count:     24
    .sgpr_spill_count: 0
    .symbol:         _ZL20rocblas_trmvn_kernelILi64ELi16ELb1ELb1EPKPKfPKPfS4_EviT3_lllT4_lllT5_li.kd
    .uniform_work_group_size: 1
    .uses_dynamic_stack: false
    .vgpr_count:     12
    .vgpr_spill_count: 0
    .wavefront_size: 32
    .workgroup_processor_mode: 1
  - .args:
      - .offset:         0
        .size:           4
        .value_kind:     by_value
      - .address_space:  global
        .offset:         8
        .size:           8
        .value_kind:     global_buffer
      - .offset:         16
        .size:           8
        .value_kind:     by_value
      - .offset:         24
        .size:           8
        .value_kind:     by_value
      - .offset:         32
        .size:           8
        .value_kind:     by_value
      - .address_space:  global
        .offset:         40
        .size:           8
        .value_kind:     global_buffer
      - .offset:         48
        .size:           8
        .value_kind:     by_value
      - .offset:         56
        .size:           8
        .value_kind:     by_value
      - .offset:         64
        .size:           8
        .value_kind:     by_value
      - .address_space:  global
        .offset:         72
        .size:           8
        .value_kind:     global_buffer
      - .offset:         80
        .size:           8
        .value_kind:     by_value
      - .offset:         88
        .size:           4
        .value_kind:     by_value
    .group_segment_fixed_size: 128
    .kernarg_segment_align: 8
    .kernarg_segment_size: 92
    .language:       OpenCL C
    .language_version:
      - 2
      - 0
    .max_flat_workgroup_size: 512
    .name:           _ZL20rocblas_trmvt_kernelILi512ELb1ELb0ELb1EPKPKfPKPfS4_EviT3_lllT4_lllT5_li
    .private_segment_fixed_size: 0
    .sgpr_count:     24
    .sgpr_spill_count: 0
    .symbol:         _ZL20rocblas_trmvt_kernelILi512ELb1ELb0ELb1EPKPKfPKPfS4_EviT3_lllT4_lllT5_li.kd
    .uniform_work_group_size: 1
    .uses_dynamic_stack: false
    .vgpr_count:     10
    .vgpr_spill_count: 0
    .wavefront_size: 32
    .workgroup_processor_mode: 1
  - .args:
      - .offset:         0
        .size:           4
        .value_kind:     by_value
      - .address_space:  global
        .offset:         8
        .size:           8
        .value_kind:     global_buffer
      - .offset:         16
        .size:           8
        .value_kind:     by_value
      - .offset:         24
        .size:           8
        .value_kind:     by_value
      - .offset:         32
        .size:           8
        .value_kind:     by_value
      - .address_space:  global
        .offset:         40
        .size:           8
        .value_kind:     global_buffer
      - .offset:         48
        .size:           8
        .value_kind:     by_value
      - .offset:         56
        .size:           8
        .value_kind:     by_value
      - .offset:         64
        .size:           8
        .value_kind:     by_value
      - .address_space:  global
        .offset:         72
        .size:           8
        .value_kind:     global_buffer
      - .offset:         80
        .size:           8
        .value_kind:     by_value
      - .offset:         88
        .size:           4
        .value_kind:     by_value
    .group_segment_fixed_size: 128
    .kernarg_segment_align: 8
    .kernarg_segment_size: 92
    .language:       OpenCL C
    .language_version:
      - 2
      - 0
    .max_flat_workgroup_size: 512
    .name:           _ZL20rocblas_trmvt_kernelILi512ELb1ELb1ELb1EPKPKfPKPfS4_EviT3_lllT4_lllT5_li
    .private_segment_fixed_size: 0
    .sgpr_count:     24
    .sgpr_spill_count: 0
    .symbol:         _ZL20rocblas_trmvt_kernelILi512ELb1ELb1ELb1EPKPKfPKPfS4_EviT3_lllT4_lllT5_li.kd
    .uniform_work_group_size: 1
    .uses_dynamic_stack: false
    .vgpr_count:     10
    .vgpr_spill_count: 0
    .wavefront_size: 32
    .workgroup_processor_mode: 1
  - .args:
      - .offset:         0
        .size:           4
        .value_kind:     by_value
      - .address_space:  global
        .offset:         8
        .size:           8
        .value_kind:     global_buffer
      - .offset:         16
        .size:           8
        .value_kind:     by_value
      - .offset:         24
        .size:           8
        .value_kind:     by_value
      - .offset:         32
        .size:           8
        .value_kind:     by_value
      - .address_space:  global
        .offset:         40
        .size:           8
        .value_kind:     global_buffer
      - .offset:         48
        .size:           8
        .value_kind:     by_value
      - .offset:         56
        .size:           8
        .value_kind:     by_value
      - .offset:         64
        .size:           8
        .value_kind:     by_value
      - .address_space:  global
        .offset:         72
        .size:           8
        .value_kind:     global_buffer
      - .offset:         80
        .size:           8
        .value_kind:     by_value
      - .offset:         88
        .size:           4
        .value_kind:     by_value
      - .offset:         96
        .size:           4
        .value_kind:     hidden_block_count_x
      - .offset:         100
        .size:           4
        .value_kind:     hidden_block_count_y
      - .offset:         104
        .size:           4
        .value_kind:     hidden_block_count_z
      - .offset:         108
        .size:           2
        .value_kind:     hidden_group_size_x
      - .offset:         110
        .size:           2
        .value_kind:     hidden_group_size_y
      - .offset:         112
        .size:           2
        .value_kind:     hidden_group_size_z
      - .offset:         114
        .size:           2
        .value_kind:     hidden_remainder_x
      - .offset:         116
        .size:           2
        .value_kind:     hidden_remainder_y
      - .offset:         118
        .size:           2
        .value_kind:     hidden_remainder_z
      - .offset:         136
        .size:           8
        .value_kind:     hidden_global_offset_x
      - .offset:         144
        .size:           8
        .value_kind:     hidden_global_offset_y
      - .offset:         152
        .size:           8
        .value_kind:     hidden_global_offset_z
      - .offset:         160
        .size:           2
        .value_kind:     hidden_grid_dims
    .group_segment_fixed_size: 4096
    .kernarg_segment_align: 8
    .kernarg_segment_size: 352
    .language:       OpenCL C
    .language_version:
      - 2
      - 0
    .max_flat_workgroup_size: 1024
    .name:           _ZL20rocblas_trmvn_kernelILi64ELi16ELb1ELb0EPKPKfPKPfS4_EviT3_lllT4_lllT5_li
    .private_segment_fixed_size: 0
    .sgpr_count:     24
    .sgpr_spill_count: 0
    .symbol:         _ZL20rocblas_trmvn_kernelILi64ELi16ELb1ELb0EPKPKfPKPfS4_EviT3_lllT4_lllT5_li.kd
    .uniform_work_group_size: 1
    .uses_dynamic_stack: false
    .vgpr_count:     12
    .vgpr_spill_count: 0
    .wavefront_size: 32
    .workgroup_processor_mode: 1
  - .args:
      - .offset:         0
        .size:           4
        .value_kind:     by_value
      - .address_space:  global
        .offset:         8
        .size:           8
        .value_kind:     global_buffer
      - .offset:         16
        .size:           8
        .value_kind:     by_value
      - .offset:         24
        .size:           8
        .value_kind:     by_value
      - .offset:         32
        .size:           8
        .value_kind:     by_value
      - .address_space:  global
        .offset:         40
        .size:           8
        .value_kind:     global_buffer
      - .offset:         48
        .size:           8
        .value_kind:     by_value
      - .offset:         56
        .size:           8
        .value_kind:     by_value
      - .offset:         64
        .size:           8
        .value_kind:     by_value
      - .address_space:  global
        .offset:         72
        .size:           8
        .value_kind:     global_buffer
      - .offset:         80
        .size:           8
        .value_kind:     by_value
      - .offset:         88
        .size:           4
        .value_kind:     by_value
    .group_segment_fixed_size: 128
    .kernarg_segment_align: 8
    .kernarg_segment_size: 92
    .language:       OpenCL C
    .language_version:
      - 2
      - 0
    .max_flat_workgroup_size: 512
    .name:           _ZL20rocblas_trmvt_kernelILi512ELb1ELb0ELb0EPKPKfPKPfS4_EviT3_lllT4_lllT5_li
    .private_segment_fixed_size: 0
    .sgpr_count:     24
    .sgpr_spill_count: 0
    .symbol:         _ZL20rocblas_trmvt_kernelILi512ELb1ELb0ELb0EPKPKfPKPfS4_EviT3_lllT4_lllT5_li.kd
    .uniform_work_group_size: 1
    .uses_dynamic_stack: false
    .vgpr_count:     10
    .vgpr_spill_count: 0
    .wavefront_size: 32
    .workgroup_processor_mode: 1
  - .args:
      - .offset:         0
        .size:           4
        .value_kind:     by_value
      - .address_space:  global
        .offset:         8
        .size:           8
        .value_kind:     global_buffer
      - .offset:         16
        .size:           8
        .value_kind:     by_value
      - .offset:         24
        .size:           8
        .value_kind:     by_value
      - .offset:         32
        .size:           8
        .value_kind:     by_value
      - .address_space:  global
        .offset:         40
        .size:           8
        .value_kind:     global_buffer
      - .offset:         48
        .size:           8
        .value_kind:     by_value
      - .offset:         56
        .size:           8
        .value_kind:     by_value
      - .offset:         64
        .size:           8
        .value_kind:     by_value
      - .address_space:  global
        .offset:         72
        .size:           8
        .value_kind:     global_buffer
      - .offset:         80
        .size:           8
        .value_kind:     by_value
      - .offset:         88
        .size:           4
        .value_kind:     by_value
    .group_segment_fixed_size: 128
    .kernarg_segment_align: 8
    .kernarg_segment_size: 92
    .language:       OpenCL C
    .language_version:
      - 2
      - 0
    .max_flat_workgroup_size: 512
    .name:           _ZL20rocblas_trmvt_kernelILi512ELb1ELb1ELb0EPKPKfPKPfS4_EviT3_lllT4_lllT5_li
    .private_segment_fixed_size: 0
    .sgpr_count:     24
    .sgpr_spill_count: 0
    .symbol:         _ZL20rocblas_trmvt_kernelILi512ELb1ELb1ELb0EPKPKfPKPfS4_EviT3_lllT4_lllT5_li.kd
    .uniform_work_group_size: 1
    .uses_dynamic_stack: false
    .vgpr_count:     10
    .vgpr_spill_count: 0
    .wavefront_size: 32
    .workgroup_processor_mode: 1
  - .args:
      - .offset:         0
        .size:           4
        .value_kind:     by_value
      - .address_space:  global
        .offset:         8
        .size:           8
        .value_kind:     global_buffer
      - .offset:         16
        .size:           8
        .value_kind:     by_value
      - .offset:         24
        .size:           8
        .value_kind:     by_value
      - .offset:         32
        .size:           8
        .value_kind:     by_value
      - .address_space:  global
        .offset:         40
        .size:           8
        .value_kind:     global_buffer
      - .offset:         48
        .size:           8
        .value_kind:     by_value
      - .offset:         56
        .size:           8
        .value_kind:     by_value
      - .offset:         64
        .size:           8
        .value_kind:     by_value
      - .address_space:  global
        .offset:         72
        .size:           8
        .value_kind:     global_buffer
      - .offset:         80
        .size:           8
        .value_kind:     by_value
      - .offset:         88
        .size:           4
        .value_kind:     by_value
      - .offset:         96
        .size:           4
        .value_kind:     hidden_block_count_x
      - .offset:         100
        .size:           4
        .value_kind:     hidden_block_count_y
      - .offset:         104
        .size:           4
        .value_kind:     hidden_block_count_z
      - .offset:         108
        .size:           2
        .value_kind:     hidden_group_size_x
      - .offset:         110
        .size:           2
        .value_kind:     hidden_group_size_y
      - .offset:         112
        .size:           2
        .value_kind:     hidden_group_size_z
      - .offset:         114
        .size:           2
        .value_kind:     hidden_remainder_x
      - .offset:         116
        .size:           2
        .value_kind:     hidden_remainder_y
      - .offset:         118
        .size:           2
        .value_kind:     hidden_remainder_z
      - .offset:         136
        .size:           8
        .value_kind:     hidden_global_offset_x
      - .offset:         144
        .size:           8
        .value_kind:     hidden_global_offset_y
      - .offset:         152
        .size:           8
        .value_kind:     hidden_global_offset_z
      - .offset:         160
        .size:           2
        .value_kind:     hidden_grid_dims
    .group_segment_fixed_size: 8192
    .kernarg_segment_align: 8
    .kernarg_segment_size: 352
    .language:       OpenCL C
    .language_version:
      - 2
      - 0
    .max_flat_workgroup_size: 1024
    .name:           _ZL20rocblas_trmvn_kernelILi64ELi16ELb0ELb1EPKPKdPKPdS4_EviT3_lllT4_lllT5_li
    .private_segment_fixed_size: 0
    .sgpr_count:     24
    .sgpr_spill_count: 0
    .symbol:         _ZL20rocblas_trmvn_kernelILi64ELi16ELb0ELb1EPKPKdPKPdS4_EviT3_lllT4_lllT5_li.kd
    .uniform_work_group_size: 1
    .uses_dynamic_stack: false
    .vgpr_count:     14
    .vgpr_spill_count: 0
    .wavefront_size: 32
    .workgroup_processor_mode: 1
  - .args:
      - .offset:         0
        .size:           4
        .value_kind:     by_value
      - .address_space:  global
        .offset:         8
        .size:           8
        .value_kind:     global_buffer
      - .offset:         16
        .size:           8
        .value_kind:     by_value
      - .offset:         24
        .size:           8
        .value_kind:     by_value
      - .offset:         32
        .size:           8
        .value_kind:     by_value
      - .address_space:  global
        .offset:         40
        .size:           8
        .value_kind:     global_buffer
      - .offset:         48
        .size:           8
        .value_kind:     by_value
      - .offset:         56
        .size:           8
        .value_kind:     by_value
      - .offset:         64
        .size:           8
        .value_kind:     by_value
      - .address_space:  global
        .offset:         72
        .size:           8
        .value_kind:     global_buffer
      - .offset:         80
        .size:           8
        .value_kind:     by_value
      - .offset:         88
        .size:           4
        .value_kind:     by_value
    .group_segment_fixed_size: 256
    .kernarg_segment_align: 8
    .kernarg_segment_size: 92
    .language:       OpenCL C
    .language_version:
      - 2
      - 0
    .max_flat_workgroup_size: 512
    .name:           _ZL20rocblas_trmvt_kernelILi512ELb0ELb0ELb1EPKPKdPKPdS4_EviT3_lllT4_lllT5_li
    .private_segment_fixed_size: 0
    .sgpr_count:     24
    .sgpr_spill_count: 0
    .symbol:         _ZL20rocblas_trmvt_kernelILi512ELb0ELb0ELb1EPKPKdPKPdS4_EviT3_lllT4_lllT5_li.kd
    .uniform_work_group_size: 1
    .uses_dynamic_stack: false
    .vgpr_count:     12
    .vgpr_spill_count: 0
    .wavefront_size: 32
    .workgroup_processor_mode: 1
  - .args:
      - .offset:         0
        .size:           4
        .value_kind:     by_value
      - .address_space:  global
        .offset:         8
        .size:           8
        .value_kind:     global_buffer
      - .offset:         16
        .size:           8
        .value_kind:     by_value
      - .offset:         24
        .size:           8
        .value_kind:     by_value
      - .offset:         32
        .size:           8
        .value_kind:     by_value
      - .address_space:  global
        .offset:         40
        .size:           8
        .value_kind:     global_buffer
      - .offset:         48
        .size:           8
        .value_kind:     by_value
      - .offset:         56
        .size:           8
        .value_kind:     by_value
      - .offset:         64
        .size:           8
        .value_kind:     by_value
      - .address_space:  global
        .offset:         72
        .size:           8
        .value_kind:     global_buffer
      - .offset:         80
        .size:           8
        .value_kind:     by_value
      - .offset:         88
        .size:           4
        .value_kind:     by_value
    .group_segment_fixed_size: 256
    .kernarg_segment_align: 8
    .kernarg_segment_size: 92
    .language:       OpenCL C
    .language_version:
      - 2
      - 0
    .max_flat_workgroup_size: 512
    .name:           _ZL20rocblas_trmvt_kernelILi512ELb0ELb1ELb1EPKPKdPKPdS4_EviT3_lllT4_lllT5_li
    .private_segment_fixed_size: 0
    .sgpr_count:     24
    .sgpr_spill_count: 0
    .symbol:         _ZL20rocblas_trmvt_kernelILi512ELb0ELb1ELb1EPKPKdPKPdS4_EviT3_lllT4_lllT5_li.kd
    .uniform_work_group_size: 1
    .uses_dynamic_stack: false
    .vgpr_count:     12
    .vgpr_spill_count: 0
    .wavefront_size: 32
    .workgroup_processor_mode: 1
  - .args:
      - .offset:         0
        .size:           4
        .value_kind:     by_value
      - .address_space:  global
        .offset:         8
        .size:           8
        .value_kind:     global_buffer
      - .offset:         16
        .size:           8
        .value_kind:     by_value
      - .offset:         24
        .size:           8
        .value_kind:     by_value
      - .offset:         32
        .size:           8
        .value_kind:     by_value
      - .address_space:  global
        .offset:         40
        .size:           8
        .value_kind:     global_buffer
      - .offset:         48
        .size:           8
        .value_kind:     by_value
      - .offset:         56
        .size:           8
        .value_kind:     by_value
      - .offset:         64
        .size:           8
        .value_kind:     by_value
      - .address_space:  global
        .offset:         72
        .size:           8
        .value_kind:     global_buffer
      - .offset:         80
        .size:           8
        .value_kind:     by_value
      - .offset:         88
        .size:           4
        .value_kind:     by_value
      - .offset:         96
        .size:           4
        .value_kind:     hidden_block_count_x
      - .offset:         100
        .size:           4
        .value_kind:     hidden_block_count_y
      - .offset:         104
        .size:           4
        .value_kind:     hidden_block_count_z
      - .offset:         108
        .size:           2
        .value_kind:     hidden_group_size_x
      - .offset:         110
        .size:           2
        .value_kind:     hidden_group_size_y
      - .offset:         112
        .size:           2
        .value_kind:     hidden_group_size_z
      - .offset:         114
        .size:           2
        .value_kind:     hidden_remainder_x
      - .offset:         116
        .size:           2
        .value_kind:     hidden_remainder_y
      - .offset:         118
        .size:           2
        .value_kind:     hidden_remainder_z
      - .offset:         136
        .size:           8
        .value_kind:     hidden_global_offset_x
      - .offset:         144
        .size:           8
        .value_kind:     hidden_global_offset_y
      - .offset:         152
        .size:           8
        .value_kind:     hidden_global_offset_z
      - .offset:         160
        .size:           2
        .value_kind:     hidden_grid_dims
    .group_segment_fixed_size: 8192
    .kernarg_segment_align: 8
    .kernarg_segment_size: 352
    .language:       OpenCL C
    .language_version:
      - 2
      - 0
    .max_flat_workgroup_size: 1024
    .name:           _ZL20rocblas_trmvn_kernelILi64ELi16ELb0ELb0EPKPKdPKPdS4_EviT3_lllT4_lllT5_li
    .private_segment_fixed_size: 0
    .sgpr_count:     24
    .sgpr_spill_count: 0
    .symbol:         _ZL20rocblas_trmvn_kernelILi64ELi16ELb0ELb0EPKPKdPKPdS4_EviT3_lllT4_lllT5_li.kd
    .uniform_work_group_size: 1
    .uses_dynamic_stack: false
    .vgpr_count:     14
    .vgpr_spill_count: 0
    .wavefront_size: 32
    .workgroup_processor_mode: 1
  - .args:
      - .offset:         0
        .size:           4
        .value_kind:     by_value
      - .address_space:  global
        .offset:         8
        .size:           8
        .value_kind:     global_buffer
      - .offset:         16
        .size:           8
        .value_kind:     by_value
      - .offset:         24
        .size:           8
        .value_kind:     by_value
      - .offset:         32
        .size:           8
        .value_kind:     by_value
      - .address_space:  global
        .offset:         40
        .size:           8
        .value_kind:     global_buffer
      - .offset:         48
        .size:           8
        .value_kind:     by_value
      - .offset:         56
        .size:           8
        .value_kind:     by_value
      - .offset:         64
        .size:           8
        .value_kind:     by_value
      - .address_space:  global
        .offset:         72
        .size:           8
        .value_kind:     global_buffer
      - .offset:         80
        .size:           8
        .value_kind:     by_value
      - .offset:         88
        .size:           4
        .value_kind:     by_value
    .group_segment_fixed_size: 256
    .kernarg_segment_align: 8
    .kernarg_segment_size: 92
    .language:       OpenCL C
    .language_version:
      - 2
      - 0
    .max_flat_workgroup_size: 512
    .name:           _ZL20rocblas_trmvt_kernelILi512ELb0ELb0ELb0EPKPKdPKPdS4_EviT3_lllT4_lllT5_li
    .private_segment_fixed_size: 0
    .sgpr_count:     26
    .sgpr_spill_count: 0
    .symbol:         _ZL20rocblas_trmvt_kernelILi512ELb0ELb0ELb0EPKPKdPKPdS4_EviT3_lllT4_lllT5_li.kd
    .uniform_work_group_size: 1
    .uses_dynamic_stack: false
    .vgpr_count:     12
    .vgpr_spill_count: 0
    .wavefront_size: 32
    .workgroup_processor_mode: 1
  - .args:
      - .offset:         0
        .size:           4
        .value_kind:     by_value
      - .address_space:  global
        .offset:         8
        .size:           8
        .value_kind:     global_buffer
      - .offset:         16
        .size:           8
        .value_kind:     by_value
      - .offset:         24
        .size:           8
        .value_kind:     by_value
      - .offset:         32
        .size:           8
        .value_kind:     by_value
      - .address_space:  global
        .offset:         40
        .size:           8
        .value_kind:     global_buffer
      - .offset:         48
        .size:           8
        .value_kind:     by_value
      - .offset:         56
        .size:           8
        .value_kind:     by_value
      - .offset:         64
        .size:           8
        .value_kind:     by_value
      - .address_space:  global
        .offset:         72
        .size:           8
        .value_kind:     global_buffer
      - .offset:         80
        .size:           8
        .value_kind:     by_value
      - .offset:         88
        .size:           4
        .value_kind:     by_value
    .group_segment_fixed_size: 256
    .kernarg_segment_align: 8
    .kernarg_segment_size: 92
    .language:       OpenCL C
    .language_version:
      - 2
      - 0
    .max_flat_workgroup_size: 512
    .name:           _ZL20rocblas_trmvt_kernelILi512ELb0ELb1ELb0EPKPKdPKPdS4_EviT3_lllT4_lllT5_li
    .private_segment_fixed_size: 0
    .sgpr_count:     26
    .sgpr_spill_count: 0
    .symbol:         _ZL20rocblas_trmvt_kernelILi512ELb0ELb1ELb0EPKPKdPKPdS4_EviT3_lllT4_lllT5_li.kd
    .uniform_work_group_size: 1
    .uses_dynamic_stack: false
    .vgpr_count:     12
    .vgpr_spill_count: 0
    .wavefront_size: 32
    .workgroup_processor_mode: 1
  - .args:
      - .offset:         0
        .size:           4
        .value_kind:     by_value
      - .address_space:  global
        .offset:         8
        .size:           8
        .value_kind:     global_buffer
      - .offset:         16
        .size:           8
        .value_kind:     by_value
      - .offset:         24
        .size:           8
        .value_kind:     by_value
      - .offset:         32
        .size:           8
        .value_kind:     by_value
      - .address_space:  global
        .offset:         40
        .size:           8
        .value_kind:     global_buffer
      - .offset:         48
        .size:           8
        .value_kind:     by_value
      - .offset:         56
        .size:           8
        .value_kind:     by_value
      - .offset:         64
        .size:           8
        .value_kind:     by_value
      - .address_space:  global
        .offset:         72
        .size:           8
        .value_kind:     global_buffer
      - .offset:         80
        .size:           8
        .value_kind:     by_value
      - .offset:         88
        .size:           4
        .value_kind:     by_value
      - .offset:         96
        .size:           4
        .value_kind:     hidden_block_count_x
      - .offset:         100
        .size:           4
        .value_kind:     hidden_block_count_y
      - .offset:         104
        .size:           4
        .value_kind:     hidden_block_count_z
      - .offset:         108
        .size:           2
        .value_kind:     hidden_group_size_x
      - .offset:         110
        .size:           2
        .value_kind:     hidden_group_size_y
      - .offset:         112
        .size:           2
        .value_kind:     hidden_group_size_z
      - .offset:         114
        .size:           2
        .value_kind:     hidden_remainder_x
      - .offset:         116
        .size:           2
        .value_kind:     hidden_remainder_y
      - .offset:         118
        .size:           2
        .value_kind:     hidden_remainder_z
      - .offset:         136
        .size:           8
        .value_kind:     hidden_global_offset_x
      - .offset:         144
        .size:           8
        .value_kind:     hidden_global_offset_y
      - .offset:         152
        .size:           8
        .value_kind:     hidden_global_offset_z
      - .offset:         160
        .size:           2
        .value_kind:     hidden_grid_dims
    .group_segment_fixed_size: 8192
    .kernarg_segment_align: 8
    .kernarg_segment_size: 352
    .language:       OpenCL C
    .language_version:
      - 2
      - 0
    .max_flat_workgroup_size: 1024
    .name:           _ZL20rocblas_trmvn_kernelILi64ELi16ELb1ELb1EPKPKdPKPdS4_EviT3_lllT4_lllT5_li
    .private_segment_fixed_size: 0
    .sgpr_count:     24
    .sgpr_spill_count: 0
    .symbol:         _ZL20rocblas_trmvn_kernelILi64ELi16ELb1ELb1EPKPKdPKPdS4_EviT3_lllT4_lllT5_li.kd
    .uniform_work_group_size: 1
    .uses_dynamic_stack: false
    .vgpr_count:     14
    .vgpr_spill_count: 0
    .wavefront_size: 32
    .workgroup_processor_mode: 1
  - .args:
      - .offset:         0
        .size:           4
        .value_kind:     by_value
      - .address_space:  global
        .offset:         8
        .size:           8
        .value_kind:     global_buffer
      - .offset:         16
        .size:           8
        .value_kind:     by_value
      - .offset:         24
        .size:           8
        .value_kind:     by_value
      - .offset:         32
        .size:           8
        .value_kind:     by_value
      - .address_space:  global
        .offset:         40
        .size:           8
        .value_kind:     global_buffer
      - .offset:         48
        .size:           8
        .value_kind:     by_value
      - .offset:         56
        .size:           8
        .value_kind:     by_value
      - .offset:         64
        .size:           8
        .value_kind:     by_value
      - .address_space:  global
        .offset:         72
        .size:           8
        .value_kind:     global_buffer
      - .offset:         80
        .size:           8
        .value_kind:     by_value
      - .offset:         88
        .size:           4
        .value_kind:     by_value
    .group_segment_fixed_size: 256
    .kernarg_segment_align: 8
    .kernarg_segment_size: 92
    .language:       OpenCL C
    .language_version:
      - 2
      - 0
    .max_flat_workgroup_size: 512
    .name:           _ZL20rocblas_trmvt_kernelILi512ELb1ELb0ELb1EPKPKdPKPdS4_EviT3_lllT4_lllT5_li
    .private_segment_fixed_size: 0
    .sgpr_count:     24
    .sgpr_spill_count: 0
    .symbol:         _ZL20rocblas_trmvt_kernelILi512ELb1ELb0ELb1EPKPKdPKPdS4_EviT3_lllT4_lllT5_li.kd
    .uniform_work_group_size: 1
    .uses_dynamic_stack: false
    .vgpr_count:     12
    .vgpr_spill_count: 0
    .wavefront_size: 32
    .workgroup_processor_mode: 1
  - .args:
      - .offset:         0
        .size:           4
        .value_kind:     by_value
      - .address_space:  global
        .offset:         8
        .size:           8
        .value_kind:     global_buffer
      - .offset:         16
        .size:           8
        .value_kind:     by_value
      - .offset:         24
        .size:           8
        .value_kind:     by_value
      - .offset:         32
        .size:           8
        .value_kind:     by_value
      - .address_space:  global
        .offset:         40
        .size:           8
        .value_kind:     global_buffer
      - .offset:         48
        .size:           8
        .value_kind:     by_value
      - .offset:         56
        .size:           8
        .value_kind:     by_value
      - .offset:         64
        .size:           8
        .value_kind:     by_value
      - .address_space:  global
        .offset:         72
        .size:           8
        .value_kind:     global_buffer
      - .offset:         80
        .size:           8
        .value_kind:     by_value
      - .offset:         88
        .size:           4
        .value_kind:     by_value
    .group_segment_fixed_size: 256
    .kernarg_segment_align: 8
    .kernarg_segment_size: 92
    .language:       OpenCL C
    .language_version:
      - 2
      - 0
    .max_flat_workgroup_size: 512
    .name:           _ZL20rocblas_trmvt_kernelILi512ELb1ELb1ELb1EPKPKdPKPdS4_EviT3_lllT4_lllT5_li
    .private_segment_fixed_size: 0
    .sgpr_count:     24
    .sgpr_spill_count: 0
    .symbol:         _ZL20rocblas_trmvt_kernelILi512ELb1ELb1ELb1EPKPKdPKPdS4_EviT3_lllT4_lllT5_li.kd
    .uniform_work_group_size: 1
    .uses_dynamic_stack: false
    .vgpr_count:     12
    .vgpr_spill_count: 0
    .wavefront_size: 32
    .workgroup_processor_mode: 1
  - .args:
      - .offset:         0
        .size:           4
        .value_kind:     by_value
      - .address_space:  global
        .offset:         8
        .size:           8
        .value_kind:     global_buffer
      - .offset:         16
        .size:           8
        .value_kind:     by_value
      - .offset:         24
        .size:           8
        .value_kind:     by_value
      - .offset:         32
        .size:           8
        .value_kind:     by_value
      - .address_space:  global
        .offset:         40
        .size:           8
        .value_kind:     global_buffer
      - .offset:         48
        .size:           8
        .value_kind:     by_value
      - .offset:         56
        .size:           8
        .value_kind:     by_value
      - .offset:         64
        .size:           8
        .value_kind:     by_value
      - .address_space:  global
        .offset:         72
        .size:           8
        .value_kind:     global_buffer
      - .offset:         80
        .size:           8
        .value_kind:     by_value
      - .offset:         88
        .size:           4
        .value_kind:     by_value
      - .offset:         96
        .size:           4
        .value_kind:     hidden_block_count_x
      - .offset:         100
        .size:           4
        .value_kind:     hidden_block_count_y
      - .offset:         104
        .size:           4
        .value_kind:     hidden_block_count_z
      - .offset:         108
        .size:           2
        .value_kind:     hidden_group_size_x
      - .offset:         110
        .size:           2
        .value_kind:     hidden_group_size_y
      - .offset:         112
        .size:           2
        .value_kind:     hidden_group_size_z
      - .offset:         114
        .size:           2
        .value_kind:     hidden_remainder_x
      - .offset:         116
        .size:           2
        .value_kind:     hidden_remainder_y
      - .offset:         118
        .size:           2
        .value_kind:     hidden_remainder_z
      - .offset:         136
        .size:           8
        .value_kind:     hidden_global_offset_x
      - .offset:         144
        .size:           8
        .value_kind:     hidden_global_offset_y
      - .offset:         152
        .size:           8
        .value_kind:     hidden_global_offset_z
      - .offset:         160
        .size:           2
        .value_kind:     hidden_grid_dims
    .group_segment_fixed_size: 8192
    .kernarg_segment_align: 8
    .kernarg_segment_size: 352
    .language:       OpenCL C
    .language_version:
      - 2
      - 0
    .max_flat_workgroup_size: 1024
    .name:           _ZL20rocblas_trmvn_kernelILi64ELi16ELb1ELb0EPKPKdPKPdS4_EviT3_lllT4_lllT5_li
    .private_segment_fixed_size: 0
    .sgpr_count:     24
    .sgpr_spill_count: 0
    .symbol:         _ZL20rocblas_trmvn_kernelILi64ELi16ELb1ELb0EPKPKdPKPdS4_EviT3_lllT4_lllT5_li.kd
    .uniform_work_group_size: 1
    .uses_dynamic_stack: false
    .vgpr_count:     14
    .vgpr_spill_count: 0
    .wavefront_size: 32
    .workgroup_processor_mode: 1
  - .args:
      - .offset:         0
        .size:           4
        .value_kind:     by_value
      - .address_space:  global
        .offset:         8
        .size:           8
        .value_kind:     global_buffer
      - .offset:         16
        .size:           8
        .value_kind:     by_value
      - .offset:         24
        .size:           8
        .value_kind:     by_value
      - .offset:         32
        .size:           8
        .value_kind:     by_value
      - .address_space:  global
        .offset:         40
        .size:           8
        .value_kind:     global_buffer
      - .offset:         48
        .size:           8
        .value_kind:     by_value
      - .offset:         56
        .size:           8
        .value_kind:     by_value
      - .offset:         64
        .size:           8
        .value_kind:     by_value
      - .address_space:  global
        .offset:         72
        .size:           8
        .value_kind:     global_buffer
      - .offset:         80
        .size:           8
        .value_kind:     by_value
      - .offset:         88
        .size:           4
        .value_kind:     by_value
    .group_segment_fixed_size: 256
    .kernarg_segment_align: 8
    .kernarg_segment_size: 92
    .language:       OpenCL C
    .language_version:
      - 2
      - 0
    .max_flat_workgroup_size: 512
    .name:           _ZL20rocblas_trmvt_kernelILi512ELb1ELb0ELb0EPKPKdPKPdS4_EviT3_lllT4_lllT5_li
    .private_segment_fixed_size: 0
    .sgpr_count:     26
    .sgpr_spill_count: 0
    .symbol:         _ZL20rocblas_trmvt_kernelILi512ELb1ELb0ELb0EPKPKdPKPdS4_EviT3_lllT4_lllT5_li.kd
    .uniform_work_group_size: 1
    .uses_dynamic_stack: false
    .vgpr_count:     12
    .vgpr_spill_count: 0
    .wavefront_size: 32
    .workgroup_processor_mode: 1
  - .args:
      - .offset:         0
        .size:           4
        .value_kind:     by_value
      - .address_space:  global
        .offset:         8
        .size:           8
        .value_kind:     global_buffer
      - .offset:         16
        .size:           8
        .value_kind:     by_value
      - .offset:         24
        .size:           8
        .value_kind:     by_value
      - .offset:         32
        .size:           8
        .value_kind:     by_value
      - .address_space:  global
        .offset:         40
        .size:           8
        .value_kind:     global_buffer
      - .offset:         48
        .size:           8
        .value_kind:     by_value
      - .offset:         56
        .size:           8
        .value_kind:     by_value
      - .offset:         64
        .size:           8
        .value_kind:     by_value
      - .address_space:  global
        .offset:         72
        .size:           8
        .value_kind:     global_buffer
      - .offset:         80
        .size:           8
        .value_kind:     by_value
      - .offset:         88
        .size:           4
        .value_kind:     by_value
    .group_segment_fixed_size: 256
    .kernarg_segment_align: 8
    .kernarg_segment_size: 92
    .language:       OpenCL C
    .language_version:
      - 2
      - 0
    .max_flat_workgroup_size: 512
    .name:           _ZL20rocblas_trmvt_kernelILi512ELb1ELb1ELb0EPKPKdPKPdS4_EviT3_lllT4_lllT5_li
    .private_segment_fixed_size: 0
    .sgpr_count:     26
    .sgpr_spill_count: 0
    .symbol:         _ZL20rocblas_trmvt_kernelILi512ELb1ELb1ELb0EPKPKdPKPdS4_EviT3_lllT4_lllT5_li.kd
    .uniform_work_group_size: 1
    .uses_dynamic_stack: false
    .vgpr_count:     12
    .vgpr_spill_count: 0
    .wavefront_size: 32
    .workgroup_processor_mode: 1
  - .args:
      - .offset:         0
        .size:           4
        .value_kind:     by_value
      - .address_space:  global
        .offset:         8
        .size:           8
        .value_kind:     global_buffer
      - .offset:         16
        .size:           8
        .value_kind:     by_value
      - .offset:         24
        .size:           8
        .value_kind:     by_value
      - .offset:         32
        .size:           8
        .value_kind:     by_value
      - .address_space:  global
        .offset:         40
        .size:           8
        .value_kind:     global_buffer
      - .offset:         48
        .size:           8
        .value_kind:     by_value
      - .offset:         56
        .size:           8
        .value_kind:     by_value
      - .offset:         64
        .size:           8
        .value_kind:     by_value
      - .address_space:  global
        .offset:         72
        .size:           8
        .value_kind:     global_buffer
      - .offset:         80
        .size:           8
        .value_kind:     by_value
      - .offset:         88
        .size:           4
        .value_kind:     by_value
      - .offset:         96
        .size:           4
        .value_kind:     hidden_block_count_x
      - .offset:         100
        .size:           4
        .value_kind:     hidden_block_count_y
      - .offset:         104
        .size:           4
        .value_kind:     hidden_block_count_z
      - .offset:         108
        .size:           2
        .value_kind:     hidden_group_size_x
      - .offset:         110
        .size:           2
        .value_kind:     hidden_group_size_y
      - .offset:         112
        .size:           2
        .value_kind:     hidden_group_size_z
      - .offset:         114
        .size:           2
        .value_kind:     hidden_remainder_x
      - .offset:         116
        .size:           2
        .value_kind:     hidden_remainder_y
      - .offset:         118
        .size:           2
        .value_kind:     hidden_remainder_z
      - .offset:         136
        .size:           8
        .value_kind:     hidden_global_offset_x
      - .offset:         144
        .size:           8
        .value_kind:     hidden_global_offset_y
      - .offset:         152
        .size:           8
        .value_kind:     hidden_global_offset_z
      - .offset:         160
        .size:           2
        .value_kind:     hidden_grid_dims
    .group_segment_fixed_size: 8192
    .kernarg_segment_align: 8
    .kernarg_segment_size: 352
    .language:       OpenCL C
    .language_version:
      - 2
      - 0
    .max_flat_workgroup_size: 1024
    .name:           _ZL20rocblas_trmvn_kernelILi64ELi16ELb0ELb1EPKPK19rocblas_complex_numIfEPKPS1_S6_EviT3_lllT4_lllT5_li
    .private_segment_fixed_size: 0
    .sgpr_count:     24
    .sgpr_spill_count: 0
    .symbol:         _ZL20rocblas_trmvn_kernelILi64ELi16ELb0ELb1EPKPK19rocblas_complex_numIfEPKPS1_S6_EviT3_lllT4_lllT5_li.kd
    .uniform_work_group_size: 1
    .uses_dynamic_stack: false
    .vgpr_count:     16
    .vgpr_spill_count: 0
    .wavefront_size: 32
    .workgroup_processor_mode: 1
  - .args:
      - .offset:         0
        .size:           4
        .value_kind:     by_value
      - .address_space:  global
        .offset:         8
        .size:           8
        .value_kind:     global_buffer
      - .offset:         16
        .size:           8
        .value_kind:     by_value
      - .offset:         24
        .size:           8
        .value_kind:     by_value
      - .offset:         32
        .size:           8
        .value_kind:     by_value
      - .address_space:  global
        .offset:         40
        .size:           8
        .value_kind:     global_buffer
      - .offset:         48
        .size:           8
        .value_kind:     by_value
      - .offset:         56
        .size:           8
        .value_kind:     by_value
      - .offset:         64
        .size:           8
        .value_kind:     by_value
      - .address_space:  global
        .offset:         72
        .size:           8
        .value_kind:     global_buffer
      - .offset:         80
        .size:           8
        .value_kind:     by_value
      - .offset:         88
        .size:           4
        .value_kind:     by_value
    .group_segment_fixed_size: 256
    .kernarg_segment_align: 8
    .kernarg_segment_size: 92
    .language:       OpenCL C
    .language_version:
      - 2
      - 0
    .max_flat_workgroup_size: 512
    .name:           _ZL20rocblas_trmvt_kernelILi512ELb0ELb0ELb1EPKPK19rocblas_complex_numIfEPKPS1_S6_EviT3_lllT4_lllT5_li
    .private_segment_fixed_size: 0
    .sgpr_count:     24
    .sgpr_spill_count: 0
    .symbol:         _ZL20rocblas_trmvt_kernelILi512ELb0ELb0ELb1EPKPK19rocblas_complex_numIfEPKPS1_S6_EviT3_lllT4_lllT5_li.kd
    .uniform_work_group_size: 1
    .uses_dynamic_stack: false
    .vgpr_count:     13
    .vgpr_spill_count: 0
    .wavefront_size: 32
    .workgroup_processor_mode: 1
  - .args:
      - .offset:         0
        .size:           4
        .value_kind:     by_value
      - .address_space:  global
        .offset:         8
        .size:           8
        .value_kind:     global_buffer
      - .offset:         16
        .size:           8
        .value_kind:     by_value
      - .offset:         24
        .size:           8
        .value_kind:     by_value
      - .offset:         32
        .size:           8
        .value_kind:     by_value
      - .address_space:  global
        .offset:         40
        .size:           8
        .value_kind:     global_buffer
      - .offset:         48
        .size:           8
        .value_kind:     by_value
      - .offset:         56
        .size:           8
        .value_kind:     by_value
      - .offset:         64
        .size:           8
        .value_kind:     by_value
      - .address_space:  global
        .offset:         72
        .size:           8
        .value_kind:     global_buffer
      - .offset:         80
        .size:           8
        .value_kind:     by_value
      - .offset:         88
        .size:           4
        .value_kind:     by_value
    .group_segment_fixed_size: 256
    .kernarg_segment_align: 8
    .kernarg_segment_size: 92
    .language:       OpenCL C
    .language_version:
      - 2
      - 0
    .max_flat_workgroup_size: 512
    .name:           _ZL20rocblas_trmvt_kernelILi512ELb0ELb1ELb1EPKPK19rocblas_complex_numIfEPKPS1_S6_EviT3_lllT4_lllT5_li
    .private_segment_fixed_size: 0
    .sgpr_count:     24
    .sgpr_spill_count: 0
    .symbol:         _ZL20rocblas_trmvt_kernelILi512ELb0ELb1ELb1EPKPK19rocblas_complex_numIfEPKPS1_S6_EviT3_lllT4_lllT5_li.kd
    .uniform_work_group_size: 1
    .uses_dynamic_stack: false
    .vgpr_count:     13
    .vgpr_spill_count: 0
    .wavefront_size: 32
    .workgroup_processor_mode: 1
  - .args:
      - .offset:         0
        .size:           4
        .value_kind:     by_value
      - .address_space:  global
        .offset:         8
        .size:           8
        .value_kind:     global_buffer
      - .offset:         16
        .size:           8
        .value_kind:     by_value
      - .offset:         24
        .size:           8
        .value_kind:     by_value
      - .offset:         32
        .size:           8
        .value_kind:     by_value
      - .address_space:  global
        .offset:         40
        .size:           8
        .value_kind:     global_buffer
      - .offset:         48
        .size:           8
        .value_kind:     by_value
      - .offset:         56
        .size:           8
        .value_kind:     by_value
      - .offset:         64
        .size:           8
        .value_kind:     by_value
      - .address_space:  global
        .offset:         72
        .size:           8
        .value_kind:     global_buffer
      - .offset:         80
        .size:           8
        .value_kind:     by_value
      - .offset:         88
        .size:           4
        .value_kind:     by_value
      - .offset:         96
        .size:           4
        .value_kind:     hidden_block_count_x
      - .offset:         100
        .size:           4
        .value_kind:     hidden_block_count_y
      - .offset:         104
        .size:           4
        .value_kind:     hidden_block_count_z
      - .offset:         108
        .size:           2
        .value_kind:     hidden_group_size_x
      - .offset:         110
        .size:           2
        .value_kind:     hidden_group_size_y
      - .offset:         112
        .size:           2
        .value_kind:     hidden_group_size_z
      - .offset:         114
        .size:           2
        .value_kind:     hidden_remainder_x
      - .offset:         116
        .size:           2
        .value_kind:     hidden_remainder_y
      - .offset:         118
        .size:           2
        .value_kind:     hidden_remainder_z
      - .offset:         136
        .size:           8
        .value_kind:     hidden_global_offset_x
      - .offset:         144
        .size:           8
        .value_kind:     hidden_global_offset_y
      - .offset:         152
        .size:           8
        .value_kind:     hidden_global_offset_z
      - .offset:         160
        .size:           2
        .value_kind:     hidden_grid_dims
    .group_segment_fixed_size: 8192
    .kernarg_segment_align: 8
    .kernarg_segment_size: 352
    .language:       OpenCL C
    .language_version:
      - 2
      - 0
    .max_flat_workgroup_size: 1024
    .name:           _ZL20rocblas_trmvn_kernelILi64ELi16ELb0ELb0EPKPK19rocblas_complex_numIfEPKPS1_S6_EviT3_lllT4_lllT5_li
    .private_segment_fixed_size: 0
    .sgpr_count:     24
    .sgpr_spill_count: 0
    .symbol:         _ZL20rocblas_trmvn_kernelILi64ELi16ELb0ELb0EPKPK19rocblas_complex_numIfEPKPS1_S6_EviT3_lllT4_lllT5_li.kd
    .uniform_work_group_size: 1
    .uses_dynamic_stack: false
    .vgpr_count:     16
    .vgpr_spill_count: 0
    .wavefront_size: 32
    .workgroup_processor_mode: 1
  - .args:
      - .offset:         0
        .size:           4
        .value_kind:     by_value
      - .address_space:  global
        .offset:         8
        .size:           8
        .value_kind:     global_buffer
      - .offset:         16
        .size:           8
        .value_kind:     by_value
      - .offset:         24
        .size:           8
        .value_kind:     by_value
      - .offset:         32
        .size:           8
        .value_kind:     by_value
      - .address_space:  global
        .offset:         40
        .size:           8
        .value_kind:     global_buffer
      - .offset:         48
        .size:           8
        .value_kind:     by_value
      - .offset:         56
        .size:           8
        .value_kind:     by_value
      - .offset:         64
        .size:           8
        .value_kind:     by_value
      - .address_space:  global
        .offset:         72
        .size:           8
        .value_kind:     global_buffer
      - .offset:         80
        .size:           8
        .value_kind:     by_value
      - .offset:         88
        .size:           4
        .value_kind:     by_value
    .group_segment_fixed_size: 256
    .kernarg_segment_align: 8
    .kernarg_segment_size: 92
    .language:       OpenCL C
    .language_version:
      - 2
      - 0
    .max_flat_workgroup_size: 512
    .name:           _ZL20rocblas_trmvt_kernelILi512ELb0ELb0ELb0EPKPK19rocblas_complex_numIfEPKPS1_S6_EviT3_lllT4_lllT5_li
    .private_segment_fixed_size: 0
    .sgpr_count:     26
    .sgpr_spill_count: 0
    .symbol:         _ZL20rocblas_trmvt_kernelILi512ELb0ELb0ELb0EPKPK19rocblas_complex_numIfEPKPS1_S6_EviT3_lllT4_lllT5_li.kd
    .uniform_work_group_size: 1
    .uses_dynamic_stack: false
    .vgpr_count:     13
    .vgpr_spill_count: 0
    .wavefront_size: 32
    .workgroup_processor_mode: 1
  - .args:
      - .offset:         0
        .size:           4
        .value_kind:     by_value
      - .address_space:  global
        .offset:         8
        .size:           8
        .value_kind:     global_buffer
      - .offset:         16
        .size:           8
        .value_kind:     by_value
      - .offset:         24
        .size:           8
        .value_kind:     by_value
      - .offset:         32
        .size:           8
        .value_kind:     by_value
      - .address_space:  global
        .offset:         40
        .size:           8
        .value_kind:     global_buffer
      - .offset:         48
        .size:           8
        .value_kind:     by_value
      - .offset:         56
        .size:           8
        .value_kind:     by_value
      - .offset:         64
        .size:           8
        .value_kind:     by_value
      - .address_space:  global
        .offset:         72
        .size:           8
        .value_kind:     global_buffer
      - .offset:         80
        .size:           8
        .value_kind:     by_value
      - .offset:         88
        .size:           4
        .value_kind:     by_value
    .group_segment_fixed_size: 256
    .kernarg_segment_align: 8
    .kernarg_segment_size: 92
    .language:       OpenCL C
    .language_version:
      - 2
      - 0
    .max_flat_workgroup_size: 512
    .name:           _ZL20rocblas_trmvt_kernelILi512ELb0ELb1ELb0EPKPK19rocblas_complex_numIfEPKPS1_S6_EviT3_lllT4_lllT5_li
    .private_segment_fixed_size: 0
    .sgpr_count:     26
    .sgpr_spill_count: 0
    .symbol:         _ZL20rocblas_trmvt_kernelILi512ELb0ELb1ELb0EPKPK19rocblas_complex_numIfEPKPS1_S6_EviT3_lllT4_lllT5_li.kd
    .uniform_work_group_size: 1
    .uses_dynamic_stack: false
    .vgpr_count:     13
    .vgpr_spill_count: 0
    .wavefront_size: 32
    .workgroup_processor_mode: 1
  - .args:
      - .offset:         0
        .size:           4
        .value_kind:     by_value
      - .address_space:  global
        .offset:         8
        .size:           8
        .value_kind:     global_buffer
      - .offset:         16
        .size:           8
        .value_kind:     by_value
      - .offset:         24
        .size:           8
        .value_kind:     by_value
      - .offset:         32
        .size:           8
        .value_kind:     by_value
      - .address_space:  global
        .offset:         40
        .size:           8
        .value_kind:     global_buffer
      - .offset:         48
        .size:           8
        .value_kind:     by_value
      - .offset:         56
        .size:           8
        .value_kind:     by_value
      - .offset:         64
        .size:           8
        .value_kind:     by_value
      - .address_space:  global
        .offset:         72
        .size:           8
        .value_kind:     global_buffer
      - .offset:         80
        .size:           8
        .value_kind:     by_value
      - .offset:         88
        .size:           4
        .value_kind:     by_value
      - .offset:         96
        .size:           4
        .value_kind:     hidden_block_count_x
      - .offset:         100
        .size:           4
        .value_kind:     hidden_block_count_y
      - .offset:         104
        .size:           4
        .value_kind:     hidden_block_count_z
      - .offset:         108
        .size:           2
        .value_kind:     hidden_group_size_x
      - .offset:         110
        .size:           2
        .value_kind:     hidden_group_size_y
      - .offset:         112
        .size:           2
        .value_kind:     hidden_group_size_z
      - .offset:         114
        .size:           2
        .value_kind:     hidden_remainder_x
      - .offset:         116
        .size:           2
        .value_kind:     hidden_remainder_y
      - .offset:         118
        .size:           2
        .value_kind:     hidden_remainder_z
      - .offset:         136
        .size:           8
        .value_kind:     hidden_global_offset_x
      - .offset:         144
        .size:           8
        .value_kind:     hidden_global_offset_y
      - .offset:         152
        .size:           8
        .value_kind:     hidden_global_offset_z
      - .offset:         160
        .size:           2
        .value_kind:     hidden_grid_dims
    .group_segment_fixed_size: 8192
    .kernarg_segment_align: 8
    .kernarg_segment_size: 352
    .language:       OpenCL C
    .language_version:
      - 2
      - 0
    .max_flat_workgroup_size: 1024
    .name:           _ZL20rocblas_trmvn_kernelILi64ELi16ELb1ELb1EPKPK19rocblas_complex_numIfEPKPS1_S6_EviT3_lllT4_lllT5_li
    .private_segment_fixed_size: 0
    .sgpr_count:     24
    .sgpr_spill_count: 0
    .symbol:         _ZL20rocblas_trmvn_kernelILi64ELi16ELb1ELb1EPKPK19rocblas_complex_numIfEPKPS1_S6_EviT3_lllT4_lllT5_li.kd
    .uniform_work_group_size: 1
    .uses_dynamic_stack: false
    .vgpr_count:     16
    .vgpr_spill_count: 0
    .wavefront_size: 32
    .workgroup_processor_mode: 1
  - .args:
      - .offset:         0
        .size:           4
        .value_kind:     by_value
      - .address_space:  global
        .offset:         8
        .size:           8
        .value_kind:     global_buffer
      - .offset:         16
        .size:           8
        .value_kind:     by_value
      - .offset:         24
        .size:           8
        .value_kind:     by_value
      - .offset:         32
        .size:           8
        .value_kind:     by_value
      - .address_space:  global
        .offset:         40
        .size:           8
        .value_kind:     global_buffer
      - .offset:         48
        .size:           8
        .value_kind:     by_value
      - .offset:         56
        .size:           8
        .value_kind:     by_value
      - .offset:         64
        .size:           8
        .value_kind:     by_value
      - .address_space:  global
        .offset:         72
        .size:           8
        .value_kind:     global_buffer
      - .offset:         80
        .size:           8
        .value_kind:     by_value
      - .offset:         88
        .size:           4
        .value_kind:     by_value
    .group_segment_fixed_size: 256
    .kernarg_segment_align: 8
    .kernarg_segment_size: 92
    .language:       OpenCL C
    .language_version:
      - 2
      - 0
    .max_flat_workgroup_size: 512
    .name:           _ZL20rocblas_trmvt_kernelILi512ELb1ELb0ELb1EPKPK19rocblas_complex_numIfEPKPS1_S6_EviT3_lllT4_lllT5_li
    .private_segment_fixed_size: 0
    .sgpr_count:     24
    .sgpr_spill_count: 0
    .symbol:         _ZL20rocblas_trmvt_kernelILi512ELb1ELb0ELb1EPKPK19rocblas_complex_numIfEPKPS1_S6_EviT3_lllT4_lllT5_li.kd
    .uniform_work_group_size: 1
    .uses_dynamic_stack: false
    .vgpr_count:     13
    .vgpr_spill_count: 0
    .wavefront_size: 32
    .workgroup_processor_mode: 1
  - .args:
      - .offset:         0
        .size:           4
        .value_kind:     by_value
      - .address_space:  global
        .offset:         8
        .size:           8
        .value_kind:     global_buffer
      - .offset:         16
        .size:           8
        .value_kind:     by_value
      - .offset:         24
        .size:           8
        .value_kind:     by_value
      - .offset:         32
        .size:           8
        .value_kind:     by_value
      - .address_space:  global
        .offset:         40
        .size:           8
        .value_kind:     global_buffer
      - .offset:         48
        .size:           8
        .value_kind:     by_value
      - .offset:         56
        .size:           8
        .value_kind:     by_value
      - .offset:         64
        .size:           8
        .value_kind:     by_value
      - .address_space:  global
        .offset:         72
        .size:           8
        .value_kind:     global_buffer
      - .offset:         80
        .size:           8
        .value_kind:     by_value
      - .offset:         88
        .size:           4
        .value_kind:     by_value
    .group_segment_fixed_size: 256
    .kernarg_segment_align: 8
    .kernarg_segment_size: 92
    .language:       OpenCL C
    .language_version:
      - 2
      - 0
    .max_flat_workgroup_size: 512
    .name:           _ZL20rocblas_trmvt_kernelILi512ELb1ELb1ELb1EPKPK19rocblas_complex_numIfEPKPS1_S6_EviT3_lllT4_lllT5_li
    .private_segment_fixed_size: 0
    .sgpr_count:     24
    .sgpr_spill_count: 0
    .symbol:         _ZL20rocblas_trmvt_kernelILi512ELb1ELb1ELb1EPKPK19rocblas_complex_numIfEPKPS1_S6_EviT3_lllT4_lllT5_li.kd
    .uniform_work_group_size: 1
    .uses_dynamic_stack: false
    .vgpr_count:     13
    .vgpr_spill_count: 0
    .wavefront_size: 32
    .workgroup_processor_mode: 1
  - .args:
      - .offset:         0
        .size:           4
        .value_kind:     by_value
      - .address_space:  global
        .offset:         8
        .size:           8
        .value_kind:     global_buffer
      - .offset:         16
        .size:           8
        .value_kind:     by_value
      - .offset:         24
        .size:           8
        .value_kind:     by_value
      - .offset:         32
        .size:           8
        .value_kind:     by_value
      - .address_space:  global
        .offset:         40
        .size:           8
        .value_kind:     global_buffer
      - .offset:         48
        .size:           8
        .value_kind:     by_value
      - .offset:         56
        .size:           8
        .value_kind:     by_value
      - .offset:         64
        .size:           8
        .value_kind:     by_value
      - .address_space:  global
        .offset:         72
        .size:           8
        .value_kind:     global_buffer
      - .offset:         80
        .size:           8
        .value_kind:     by_value
      - .offset:         88
        .size:           4
        .value_kind:     by_value
      - .offset:         96
        .size:           4
        .value_kind:     hidden_block_count_x
      - .offset:         100
        .size:           4
        .value_kind:     hidden_block_count_y
      - .offset:         104
        .size:           4
        .value_kind:     hidden_block_count_z
      - .offset:         108
        .size:           2
        .value_kind:     hidden_group_size_x
      - .offset:         110
        .size:           2
        .value_kind:     hidden_group_size_y
      - .offset:         112
        .size:           2
        .value_kind:     hidden_group_size_z
      - .offset:         114
        .size:           2
        .value_kind:     hidden_remainder_x
      - .offset:         116
        .size:           2
        .value_kind:     hidden_remainder_y
      - .offset:         118
        .size:           2
        .value_kind:     hidden_remainder_z
      - .offset:         136
        .size:           8
        .value_kind:     hidden_global_offset_x
      - .offset:         144
        .size:           8
        .value_kind:     hidden_global_offset_y
      - .offset:         152
        .size:           8
        .value_kind:     hidden_global_offset_z
      - .offset:         160
        .size:           2
        .value_kind:     hidden_grid_dims
    .group_segment_fixed_size: 8192
    .kernarg_segment_align: 8
    .kernarg_segment_size: 352
    .language:       OpenCL C
    .language_version:
      - 2
      - 0
    .max_flat_workgroup_size: 1024
    .name:           _ZL20rocblas_trmvn_kernelILi64ELi16ELb1ELb0EPKPK19rocblas_complex_numIfEPKPS1_S6_EviT3_lllT4_lllT5_li
    .private_segment_fixed_size: 0
    .sgpr_count:     24
    .sgpr_spill_count: 0
    .symbol:         _ZL20rocblas_trmvn_kernelILi64ELi16ELb1ELb0EPKPK19rocblas_complex_numIfEPKPS1_S6_EviT3_lllT4_lllT5_li.kd
    .uniform_work_group_size: 1
    .uses_dynamic_stack: false
    .vgpr_count:     16
    .vgpr_spill_count: 0
    .wavefront_size: 32
    .workgroup_processor_mode: 1
  - .args:
      - .offset:         0
        .size:           4
        .value_kind:     by_value
      - .address_space:  global
        .offset:         8
        .size:           8
        .value_kind:     global_buffer
      - .offset:         16
        .size:           8
        .value_kind:     by_value
      - .offset:         24
        .size:           8
        .value_kind:     by_value
      - .offset:         32
        .size:           8
        .value_kind:     by_value
      - .address_space:  global
        .offset:         40
        .size:           8
        .value_kind:     global_buffer
      - .offset:         48
        .size:           8
        .value_kind:     by_value
      - .offset:         56
        .size:           8
        .value_kind:     by_value
      - .offset:         64
        .size:           8
        .value_kind:     by_value
      - .address_space:  global
        .offset:         72
        .size:           8
        .value_kind:     global_buffer
      - .offset:         80
        .size:           8
        .value_kind:     by_value
      - .offset:         88
        .size:           4
        .value_kind:     by_value
    .group_segment_fixed_size: 256
    .kernarg_segment_align: 8
    .kernarg_segment_size: 92
    .language:       OpenCL C
    .language_version:
      - 2
      - 0
    .max_flat_workgroup_size: 512
    .name:           _ZL20rocblas_trmvt_kernelILi512ELb1ELb0ELb0EPKPK19rocblas_complex_numIfEPKPS1_S6_EviT3_lllT4_lllT5_li
    .private_segment_fixed_size: 0
    .sgpr_count:     26
    .sgpr_spill_count: 0
    .symbol:         _ZL20rocblas_trmvt_kernelILi512ELb1ELb0ELb0EPKPK19rocblas_complex_numIfEPKPS1_S6_EviT3_lllT4_lllT5_li.kd
    .uniform_work_group_size: 1
    .uses_dynamic_stack: false
    .vgpr_count:     13
    .vgpr_spill_count: 0
    .wavefront_size: 32
    .workgroup_processor_mode: 1
  - .args:
      - .offset:         0
        .size:           4
        .value_kind:     by_value
      - .address_space:  global
        .offset:         8
        .size:           8
        .value_kind:     global_buffer
      - .offset:         16
        .size:           8
        .value_kind:     by_value
      - .offset:         24
        .size:           8
        .value_kind:     by_value
      - .offset:         32
        .size:           8
        .value_kind:     by_value
      - .address_space:  global
        .offset:         40
        .size:           8
        .value_kind:     global_buffer
      - .offset:         48
        .size:           8
        .value_kind:     by_value
      - .offset:         56
        .size:           8
        .value_kind:     by_value
      - .offset:         64
        .size:           8
        .value_kind:     by_value
      - .address_space:  global
        .offset:         72
        .size:           8
        .value_kind:     global_buffer
      - .offset:         80
        .size:           8
        .value_kind:     by_value
      - .offset:         88
        .size:           4
        .value_kind:     by_value
    .group_segment_fixed_size: 256
    .kernarg_segment_align: 8
    .kernarg_segment_size: 92
    .language:       OpenCL C
    .language_version:
      - 2
      - 0
    .max_flat_workgroup_size: 512
    .name:           _ZL20rocblas_trmvt_kernelILi512ELb1ELb1ELb0EPKPK19rocblas_complex_numIfEPKPS1_S6_EviT3_lllT4_lllT5_li
    .private_segment_fixed_size: 0
    .sgpr_count:     26
    .sgpr_spill_count: 0
    .symbol:         _ZL20rocblas_trmvt_kernelILi512ELb1ELb1ELb0EPKPK19rocblas_complex_numIfEPKPS1_S6_EviT3_lllT4_lllT5_li.kd
    .uniform_work_group_size: 1
    .uses_dynamic_stack: false
    .vgpr_count:     13
    .vgpr_spill_count: 0
    .wavefront_size: 32
    .workgroup_processor_mode: 1
  - .args:
      - .offset:         0
        .size:           4
        .value_kind:     by_value
      - .address_space:  global
        .offset:         8
        .size:           8
        .value_kind:     global_buffer
      - .offset:         16
        .size:           8
        .value_kind:     by_value
      - .offset:         24
        .size:           8
        .value_kind:     by_value
      - .offset:         32
        .size:           8
        .value_kind:     by_value
      - .address_space:  global
        .offset:         40
        .size:           8
        .value_kind:     global_buffer
      - .offset:         48
        .size:           8
        .value_kind:     by_value
      - .offset:         56
        .size:           8
        .value_kind:     by_value
      - .offset:         64
        .size:           8
        .value_kind:     by_value
      - .address_space:  global
        .offset:         72
        .size:           8
        .value_kind:     global_buffer
      - .offset:         80
        .size:           8
        .value_kind:     by_value
      - .offset:         88
        .size:           4
        .value_kind:     by_value
      - .offset:         96
        .size:           4
        .value_kind:     hidden_block_count_x
      - .offset:         100
        .size:           4
        .value_kind:     hidden_block_count_y
      - .offset:         104
        .size:           4
        .value_kind:     hidden_block_count_z
      - .offset:         108
        .size:           2
        .value_kind:     hidden_group_size_x
      - .offset:         110
        .size:           2
        .value_kind:     hidden_group_size_y
      - .offset:         112
        .size:           2
        .value_kind:     hidden_group_size_z
      - .offset:         114
        .size:           2
        .value_kind:     hidden_remainder_x
      - .offset:         116
        .size:           2
        .value_kind:     hidden_remainder_y
      - .offset:         118
        .size:           2
        .value_kind:     hidden_remainder_z
      - .offset:         136
        .size:           8
        .value_kind:     hidden_global_offset_x
      - .offset:         144
        .size:           8
        .value_kind:     hidden_global_offset_y
      - .offset:         152
        .size:           8
        .value_kind:     hidden_global_offset_z
      - .offset:         160
        .size:           2
        .value_kind:     hidden_grid_dims
    .group_segment_fixed_size: 16384
    .kernarg_segment_align: 8
    .kernarg_segment_size: 352
    .language:       OpenCL C
    .language_version:
      - 2
      - 0
    .max_flat_workgroup_size: 1024
    .name:           _ZL20rocblas_trmvn_kernelILi64ELi16ELb0ELb1EPKPK19rocblas_complex_numIdEPKPS1_S6_EviT3_lllT4_lllT5_li
    .private_segment_fixed_size: 0
    .sgpr_count:     24
    .sgpr_spill_count: 0
    .symbol:         _ZL20rocblas_trmvn_kernelILi64ELi16ELb0ELb1EPKPK19rocblas_complex_numIdEPKPS1_S6_EviT3_lllT4_lllT5_li.kd
    .uniform_work_group_size: 1
    .uses_dynamic_stack: false
    .vgpr_count:     22
    .vgpr_spill_count: 0
    .wavefront_size: 32
    .workgroup_processor_mode: 1
  - .args:
      - .offset:         0
        .size:           4
        .value_kind:     by_value
      - .address_space:  global
        .offset:         8
        .size:           8
        .value_kind:     global_buffer
      - .offset:         16
        .size:           8
        .value_kind:     by_value
      - .offset:         24
        .size:           8
        .value_kind:     by_value
      - .offset:         32
        .size:           8
        .value_kind:     by_value
      - .address_space:  global
        .offset:         40
        .size:           8
        .value_kind:     global_buffer
      - .offset:         48
        .size:           8
        .value_kind:     by_value
      - .offset:         56
        .size:           8
        .value_kind:     by_value
      - .offset:         64
        .size:           8
        .value_kind:     by_value
      - .address_space:  global
        .offset:         72
        .size:           8
        .value_kind:     global_buffer
      - .offset:         80
        .size:           8
        .value_kind:     by_value
      - .offset:         88
        .size:           4
        .value_kind:     by_value
    .group_segment_fixed_size: 512
    .kernarg_segment_align: 8
    .kernarg_segment_size: 92
    .language:       OpenCL C
    .language_version:
      - 2
      - 0
    .max_flat_workgroup_size: 512
    .name:           _ZL20rocblas_trmvt_kernelILi512ELb0ELb0ELb1EPKPK19rocblas_complex_numIdEPKPS1_S6_EviT3_lllT4_lllT5_li
    .private_segment_fixed_size: 0
    .sgpr_count:     24
    .sgpr_spill_count: 0
    .symbol:         _ZL20rocblas_trmvt_kernelILi512ELb0ELb0ELb1EPKPK19rocblas_complex_numIdEPKPS1_S6_EviT3_lllT4_lllT5_li.kd
    .uniform_work_group_size: 1
    .uses_dynamic_stack: false
    .vgpr_count:     20
    .vgpr_spill_count: 0
    .wavefront_size: 32
    .workgroup_processor_mode: 1
  - .args:
      - .offset:         0
        .size:           4
        .value_kind:     by_value
      - .address_space:  global
        .offset:         8
        .size:           8
        .value_kind:     global_buffer
      - .offset:         16
        .size:           8
        .value_kind:     by_value
      - .offset:         24
        .size:           8
        .value_kind:     by_value
      - .offset:         32
        .size:           8
        .value_kind:     by_value
      - .address_space:  global
        .offset:         40
        .size:           8
        .value_kind:     global_buffer
      - .offset:         48
        .size:           8
        .value_kind:     by_value
      - .offset:         56
        .size:           8
        .value_kind:     by_value
      - .offset:         64
        .size:           8
        .value_kind:     by_value
      - .address_space:  global
        .offset:         72
        .size:           8
        .value_kind:     global_buffer
      - .offset:         80
        .size:           8
        .value_kind:     by_value
      - .offset:         88
        .size:           4
        .value_kind:     by_value
    .group_segment_fixed_size: 512
    .kernarg_segment_align: 8
    .kernarg_segment_size: 92
    .language:       OpenCL C
    .language_version:
      - 2
      - 0
    .max_flat_workgroup_size: 512
    .name:           _ZL20rocblas_trmvt_kernelILi512ELb0ELb1ELb1EPKPK19rocblas_complex_numIdEPKPS1_S6_EviT3_lllT4_lllT5_li
    .private_segment_fixed_size: 0
    .sgpr_count:     24
    .sgpr_spill_count: 0
    .symbol:         _ZL20rocblas_trmvt_kernelILi512ELb0ELb1ELb1EPKPK19rocblas_complex_numIdEPKPS1_S6_EviT3_lllT4_lllT5_li.kd
    .uniform_work_group_size: 1
    .uses_dynamic_stack: false
    .vgpr_count:     20
    .vgpr_spill_count: 0
    .wavefront_size: 32
    .workgroup_processor_mode: 1
  - .args:
      - .offset:         0
        .size:           4
        .value_kind:     by_value
      - .address_space:  global
        .offset:         8
        .size:           8
        .value_kind:     global_buffer
      - .offset:         16
        .size:           8
        .value_kind:     by_value
      - .offset:         24
        .size:           8
        .value_kind:     by_value
      - .offset:         32
        .size:           8
        .value_kind:     by_value
      - .address_space:  global
        .offset:         40
        .size:           8
        .value_kind:     global_buffer
      - .offset:         48
        .size:           8
        .value_kind:     by_value
      - .offset:         56
        .size:           8
        .value_kind:     by_value
      - .offset:         64
        .size:           8
        .value_kind:     by_value
      - .address_space:  global
        .offset:         72
        .size:           8
        .value_kind:     global_buffer
      - .offset:         80
        .size:           8
        .value_kind:     by_value
      - .offset:         88
        .size:           4
        .value_kind:     by_value
      - .offset:         96
        .size:           4
        .value_kind:     hidden_block_count_x
      - .offset:         100
        .size:           4
        .value_kind:     hidden_block_count_y
      - .offset:         104
        .size:           4
        .value_kind:     hidden_block_count_z
      - .offset:         108
        .size:           2
        .value_kind:     hidden_group_size_x
      - .offset:         110
        .size:           2
        .value_kind:     hidden_group_size_y
      - .offset:         112
        .size:           2
        .value_kind:     hidden_group_size_z
      - .offset:         114
        .size:           2
        .value_kind:     hidden_remainder_x
      - .offset:         116
        .size:           2
        .value_kind:     hidden_remainder_y
      - .offset:         118
        .size:           2
        .value_kind:     hidden_remainder_z
      - .offset:         136
        .size:           8
        .value_kind:     hidden_global_offset_x
      - .offset:         144
        .size:           8
        .value_kind:     hidden_global_offset_y
      - .offset:         152
        .size:           8
        .value_kind:     hidden_global_offset_z
      - .offset:         160
        .size:           2
        .value_kind:     hidden_grid_dims
    .group_segment_fixed_size: 16384
    .kernarg_segment_align: 8
    .kernarg_segment_size: 352
    .language:       OpenCL C
    .language_version:
      - 2
      - 0
    .max_flat_workgroup_size: 1024
    .name:           _ZL20rocblas_trmvn_kernelILi64ELi16ELb0ELb0EPKPK19rocblas_complex_numIdEPKPS1_S6_EviT3_lllT4_lllT5_li
    .private_segment_fixed_size: 0
    .sgpr_count:     24
    .sgpr_spill_count: 0
    .symbol:         _ZL20rocblas_trmvn_kernelILi64ELi16ELb0ELb0EPKPK19rocblas_complex_numIdEPKPS1_S6_EviT3_lllT4_lllT5_li.kd
    .uniform_work_group_size: 1
    .uses_dynamic_stack: false
    .vgpr_count:     22
    .vgpr_spill_count: 0
    .wavefront_size: 32
    .workgroup_processor_mode: 1
  - .args:
      - .offset:         0
        .size:           4
        .value_kind:     by_value
      - .address_space:  global
        .offset:         8
        .size:           8
        .value_kind:     global_buffer
      - .offset:         16
        .size:           8
        .value_kind:     by_value
      - .offset:         24
        .size:           8
        .value_kind:     by_value
      - .offset:         32
        .size:           8
        .value_kind:     by_value
      - .address_space:  global
        .offset:         40
        .size:           8
        .value_kind:     global_buffer
      - .offset:         48
        .size:           8
        .value_kind:     by_value
      - .offset:         56
        .size:           8
        .value_kind:     by_value
      - .offset:         64
        .size:           8
        .value_kind:     by_value
      - .address_space:  global
        .offset:         72
        .size:           8
        .value_kind:     global_buffer
      - .offset:         80
        .size:           8
        .value_kind:     by_value
      - .offset:         88
        .size:           4
        .value_kind:     by_value
    .group_segment_fixed_size: 512
    .kernarg_segment_align: 8
    .kernarg_segment_size: 92
    .language:       OpenCL C
    .language_version:
      - 2
      - 0
    .max_flat_workgroup_size: 512
    .name:           _ZL20rocblas_trmvt_kernelILi512ELb0ELb0ELb0EPKPK19rocblas_complex_numIdEPKPS1_S6_EviT3_lllT4_lllT5_li
    .private_segment_fixed_size: 0
    .sgpr_count:     26
    .sgpr_spill_count: 0
    .symbol:         _ZL20rocblas_trmvt_kernelILi512ELb0ELb0ELb0EPKPK19rocblas_complex_numIdEPKPS1_S6_EviT3_lllT4_lllT5_li.kd
    .uniform_work_group_size: 1
    .uses_dynamic_stack: false
    .vgpr_count:     20
    .vgpr_spill_count: 0
    .wavefront_size: 32
    .workgroup_processor_mode: 1
  - .args:
      - .offset:         0
        .size:           4
        .value_kind:     by_value
      - .address_space:  global
        .offset:         8
        .size:           8
        .value_kind:     global_buffer
      - .offset:         16
        .size:           8
        .value_kind:     by_value
      - .offset:         24
        .size:           8
        .value_kind:     by_value
      - .offset:         32
        .size:           8
        .value_kind:     by_value
      - .address_space:  global
        .offset:         40
        .size:           8
        .value_kind:     global_buffer
      - .offset:         48
        .size:           8
        .value_kind:     by_value
      - .offset:         56
        .size:           8
        .value_kind:     by_value
      - .offset:         64
        .size:           8
        .value_kind:     by_value
      - .address_space:  global
        .offset:         72
        .size:           8
        .value_kind:     global_buffer
      - .offset:         80
        .size:           8
        .value_kind:     by_value
      - .offset:         88
        .size:           4
        .value_kind:     by_value
    .group_segment_fixed_size: 512
    .kernarg_segment_align: 8
    .kernarg_segment_size: 92
    .language:       OpenCL C
    .language_version:
      - 2
      - 0
    .max_flat_workgroup_size: 512
    .name:           _ZL20rocblas_trmvt_kernelILi512ELb0ELb1ELb0EPKPK19rocblas_complex_numIdEPKPS1_S6_EviT3_lllT4_lllT5_li
    .private_segment_fixed_size: 0
    .sgpr_count:     26
    .sgpr_spill_count: 0
    .symbol:         _ZL20rocblas_trmvt_kernelILi512ELb0ELb1ELb0EPKPK19rocblas_complex_numIdEPKPS1_S6_EviT3_lllT4_lllT5_li.kd
    .uniform_work_group_size: 1
    .uses_dynamic_stack: false
    .vgpr_count:     20
    .vgpr_spill_count: 0
    .wavefront_size: 32
    .workgroup_processor_mode: 1
  - .args:
      - .offset:         0
        .size:           4
        .value_kind:     by_value
      - .address_space:  global
        .offset:         8
        .size:           8
        .value_kind:     global_buffer
      - .offset:         16
        .size:           8
        .value_kind:     by_value
      - .offset:         24
        .size:           8
        .value_kind:     by_value
      - .offset:         32
        .size:           8
        .value_kind:     by_value
      - .address_space:  global
        .offset:         40
        .size:           8
        .value_kind:     global_buffer
      - .offset:         48
        .size:           8
        .value_kind:     by_value
      - .offset:         56
        .size:           8
        .value_kind:     by_value
      - .offset:         64
        .size:           8
        .value_kind:     by_value
      - .address_space:  global
        .offset:         72
        .size:           8
        .value_kind:     global_buffer
      - .offset:         80
        .size:           8
        .value_kind:     by_value
      - .offset:         88
        .size:           4
        .value_kind:     by_value
      - .offset:         96
        .size:           4
        .value_kind:     hidden_block_count_x
      - .offset:         100
        .size:           4
        .value_kind:     hidden_block_count_y
      - .offset:         104
        .size:           4
        .value_kind:     hidden_block_count_z
      - .offset:         108
        .size:           2
        .value_kind:     hidden_group_size_x
      - .offset:         110
        .size:           2
        .value_kind:     hidden_group_size_y
      - .offset:         112
        .size:           2
        .value_kind:     hidden_group_size_z
      - .offset:         114
        .size:           2
        .value_kind:     hidden_remainder_x
      - .offset:         116
        .size:           2
        .value_kind:     hidden_remainder_y
      - .offset:         118
        .size:           2
        .value_kind:     hidden_remainder_z
      - .offset:         136
        .size:           8
        .value_kind:     hidden_global_offset_x
      - .offset:         144
        .size:           8
        .value_kind:     hidden_global_offset_y
      - .offset:         152
        .size:           8
        .value_kind:     hidden_global_offset_z
      - .offset:         160
        .size:           2
        .value_kind:     hidden_grid_dims
    .group_segment_fixed_size: 16384
    .kernarg_segment_align: 8
    .kernarg_segment_size: 352
    .language:       OpenCL C
    .language_version:
      - 2
      - 0
    .max_flat_workgroup_size: 1024
    .name:           _ZL20rocblas_trmvn_kernelILi64ELi16ELb1ELb1EPKPK19rocblas_complex_numIdEPKPS1_S6_EviT3_lllT4_lllT5_li
    .private_segment_fixed_size: 0
    .sgpr_count:     24
    .sgpr_spill_count: 0
    .symbol:         _ZL20rocblas_trmvn_kernelILi64ELi16ELb1ELb1EPKPK19rocblas_complex_numIdEPKPS1_S6_EviT3_lllT4_lllT5_li.kd
    .uniform_work_group_size: 1
    .uses_dynamic_stack: false
    .vgpr_count:     22
    .vgpr_spill_count: 0
    .wavefront_size: 32
    .workgroup_processor_mode: 1
  - .args:
      - .offset:         0
        .size:           4
        .value_kind:     by_value
      - .address_space:  global
        .offset:         8
        .size:           8
        .value_kind:     global_buffer
      - .offset:         16
        .size:           8
        .value_kind:     by_value
      - .offset:         24
        .size:           8
        .value_kind:     by_value
      - .offset:         32
        .size:           8
        .value_kind:     by_value
      - .address_space:  global
        .offset:         40
        .size:           8
        .value_kind:     global_buffer
      - .offset:         48
        .size:           8
        .value_kind:     by_value
      - .offset:         56
        .size:           8
        .value_kind:     by_value
      - .offset:         64
        .size:           8
        .value_kind:     by_value
      - .address_space:  global
        .offset:         72
        .size:           8
        .value_kind:     global_buffer
      - .offset:         80
        .size:           8
        .value_kind:     by_value
      - .offset:         88
        .size:           4
        .value_kind:     by_value
    .group_segment_fixed_size: 512
    .kernarg_segment_align: 8
    .kernarg_segment_size: 92
    .language:       OpenCL C
    .language_version:
      - 2
      - 0
    .max_flat_workgroup_size: 512
    .name:           _ZL20rocblas_trmvt_kernelILi512ELb1ELb0ELb1EPKPK19rocblas_complex_numIdEPKPS1_S6_EviT3_lllT4_lllT5_li
    .private_segment_fixed_size: 0
    .sgpr_count:     24
    .sgpr_spill_count: 0
    .symbol:         _ZL20rocblas_trmvt_kernelILi512ELb1ELb0ELb1EPKPK19rocblas_complex_numIdEPKPS1_S6_EviT3_lllT4_lllT5_li.kd
    .uniform_work_group_size: 1
    .uses_dynamic_stack: false
    .vgpr_count:     20
    .vgpr_spill_count: 0
    .wavefront_size: 32
    .workgroup_processor_mode: 1
  - .args:
      - .offset:         0
        .size:           4
        .value_kind:     by_value
      - .address_space:  global
        .offset:         8
        .size:           8
        .value_kind:     global_buffer
      - .offset:         16
        .size:           8
        .value_kind:     by_value
      - .offset:         24
        .size:           8
        .value_kind:     by_value
      - .offset:         32
        .size:           8
        .value_kind:     by_value
      - .address_space:  global
        .offset:         40
        .size:           8
        .value_kind:     global_buffer
      - .offset:         48
        .size:           8
        .value_kind:     by_value
      - .offset:         56
        .size:           8
        .value_kind:     by_value
      - .offset:         64
        .size:           8
        .value_kind:     by_value
      - .address_space:  global
        .offset:         72
        .size:           8
        .value_kind:     global_buffer
      - .offset:         80
        .size:           8
        .value_kind:     by_value
      - .offset:         88
        .size:           4
        .value_kind:     by_value
    .group_segment_fixed_size: 512
    .kernarg_segment_align: 8
    .kernarg_segment_size: 92
    .language:       OpenCL C
    .language_version:
      - 2
      - 0
    .max_flat_workgroup_size: 512
    .name:           _ZL20rocblas_trmvt_kernelILi512ELb1ELb1ELb1EPKPK19rocblas_complex_numIdEPKPS1_S6_EviT3_lllT4_lllT5_li
    .private_segment_fixed_size: 0
    .sgpr_count:     24
    .sgpr_spill_count: 0
    .symbol:         _ZL20rocblas_trmvt_kernelILi512ELb1ELb1ELb1EPKPK19rocblas_complex_numIdEPKPS1_S6_EviT3_lllT4_lllT5_li.kd
    .uniform_work_group_size: 1
    .uses_dynamic_stack: false
    .vgpr_count:     20
    .vgpr_spill_count: 0
    .wavefront_size: 32
    .workgroup_processor_mode: 1
  - .args:
      - .offset:         0
        .size:           4
        .value_kind:     by_value
      - .address_space:  global
        .offset:         8
        .size:           8
        .value_kind:     global_buffer
      - .offset:         16
        .size:           8
        .value_kind:     by_value
      - .offset:         24
        .size:           8
        .value_kind:     by_value
      - .offset:         32
        .size:           8
        .value_kind:     by_value
      - .address_space:  global
        .offset:         40
        .size:           8
        .value_kind:     global_buffer
      - .offset:         48
        .size:           8
        .value_kind:     by_value
      - .offset:         56
        .size:           8
        .value_kind:     by_value
      - .offset:         64
        .size:           8
        .value_kind:     by_value
      - .address_space:  global
        .offset:         72
        .size:           8
        .value_kind:     global_buffer
      - .offset:         80
        .size:           8
        .value_kind:     by_value
      - .offset:         88
        .size:           4
        .value_kind:     by_value
      - .offset:         96
        .size:           4
        .value_kind:     hidden_block_count_x
      - .offset:         100
        .size:           4
        .value_kind:     hidden_block_count_y
      - .offset:         104
        .size:           4
        .value_kind:     hidden_block_count_z
      - .offset:         108
        .size:           2
        .value_kind:     hidden_group_size_x
      - .offset:         110
        .size:           2
        .value_kind:     hidden_group_size_y
      - .offset:         112
        .size:           2
        .value_kind:     hidden_group_size_z
      - .offset:         114
        .size:           2
        .value_kind:     hidden_remainder_x
      - .offset:         116
        .size:           2
        .value_kind:     hidden_remainder_y
      - .offset:         118
        .size:           2
        .value_kind:     hidden_remainder_z
      - .offset:         136
        .size:           8
        .value_kind:     hidden_global_offset_x
      - .offset:         144
        .size:           8
        .value_kind:     hidden_global_offset_y
      - .offset:         152
        .size:           8
        .value_kind:     hidden_global_offset_z
      - .offset:         160
        .size:           2
        .value_kind:     hidden_grid_dims
    .group_segment_fixed_size: 16384
    .kernarg_segment_align: 8
    .kernarg_segment_size: 352
    .language:       OpenCL C
    .language_version:
      - 2
      - 0
    .max_flat_workgroup_size: 1024
    .name:           _ZL20rocblas_trmvn_kernelILi64ELi16ELb1ELb0EPKPK19rocblas_complex_numIdEPKPS1_S6_EviT3_lllT4_lllT5_li
    .private_segment_fixed_size: 0
    .sgpr_count:     24
    .sgpr_spill_count: 0
    .symbol:         _ZL20rocblas_trmvn_kernelILi64ELi16ELb1ELb0EPKPK19rocblas_complex_numIdEPKPS1_S6_EviT3_lllT4_lllT5_li.kd
    .uniform_work_group_size: 1
    .uses_dynamic_stack: false
    .vgpr_count:     22
    .vgpr_spill_count: 0
    .wavefront_size: 32
    .workgroup_processor_mode: 1
  - .args:
      - .offset:         0
        .size:           4
        .value_kind:     by_value
      - .address_space:  global
        .offset:         8
        .size:           8
        .value_kind:     global_buffer
      - .offset:         16
        .size:           8
        .value_kind:     by_value
      - .offset:         24
        .size:           8
        .value_kind:     by_value
      - .offset:         32
        .size:           8
        .value_kind:     by_value
      - .address_space:  global
        .offset:         40
        .size:           8
        .value_kind:     global_buffer
      - .offset:         48
        .size:           8
        .value_kind:     by_value
      - .offset:         56
        .size:           8
        .value_kind:     by_value
      - .offset:         64
        .size:           8
        .value_kind:     by_value
      - .address_space:  global
        .offset:         72
        .size:           8
        .value_kind:     global_buffer
      - .offset:         80
        .size:           8
        .value_kind:     by_value
      - .offset:         88
        .size:           4
        .value_kind:     by_value
    .group_segment_fixed_size: 512
    .kernarg_segment_align: 8
    .kernarg_segment_size: 92
    .language:       OpenCL C
    .language_version:
      - 2
      - 0
    .max_flat_workgroup_size: 512
    .name:           _ZL20rocblas_trmvt_kernelILi512ELb1ELb0ELb0EPKPK19rocblas_complex_numIdEPKPS1_S6_EviT3_lllT4_lllT5_li
    .private_segment_fixed_size: 0
    .sgpr_count:     26
    .sgpr_spill_count: 0
    .symbol:         _ZL20rocblas_trmvt_kernelILi512ELb1ELb0ELb0EPKPK19rocblas_complex_numIdEPKPS1_S6_EviT3_lllT4_lllT5_li.kd
    .uniform_work_group_size: 1
    .uses_dynamic_stack: false
    .vgpr_count:     20
    .vgpr_spill_count: 0
    .wavefront_size: 32
    .workgroup_processor_mode: 1
  - .args:
      - .offset:         0
        .size:           4
        .value_kind:     by_value
      - .address_space:  global
        .offset:         8
        .size:           8
        .value_kind:     global_buffer
      - .offset:         16
        .size:           8
        .value_kind:     by_value
      - .offset:         24
        .size:           8
        .value_kind:     by_value
      - .offset:         32
        .size:           8
        .value_kind:     by_value
      - .address_space:  global
        .offset:         40
        .size:           8
        .value_kind:     global_buffer
      - .offset:         48
        .size:           8
        .value_kind:     by_value
      - .offset:         56
        .size:           8
        .value_kind:     by_value
      - .offset:         64
        .size:           8
        .value_kind:     by_value
      - .address_space:  global
        .offset:         72
        .size:           8
        .value_kind:     global_buffer
      - .offset:         80
        .size:           8
        .value_kind:     by_value
      - .offset:         88
        .size:           4
        .value_kind:     by_value
    .group_segment_fixed_size: 512
    .kernarg_segment_align: 8
    .kernarg_segment_size: 92
    .language:       OpenCL C
    .language_version:
      - 2
      - 0
    .max_flat_workgroup_size: 512
    .name:           _ZL20rocblas_trmvt_kernelILi512ELb1ELb1ELb0EPKPK19rocblas_complex_numIdEPKPS1_S6_EviT3_lllT4_lllT5_li
    .private_segment_fixed_size: 0
    .sgpr_count:     26
    .sgpr_spill_count: 0
    .symbol:         _ZL20rocblas_trmvt_kernelILi512ELb1ELb1ELb0EPKPK19rocblas_complex_numIdEPKPS1_S6_EviT3_lllT4_lllT5_li.kd
    .uniform_work_group_size: 1
    .uses_dynamic_stack: false
    .vgpr_count:     20
    .vgpr_spill_count: 0
    .wavefront_size: 32
    .workgroup_processor_mode: 1
amdhsa.target:   amdgcn-amd-amdhsa--gfx1030
amdhsa.version:
  - 1
  - 2
...

	.end_amdgpu_metadata
